;; amdgpu-corpus repo=ROCm/rocFFT kind=compiled arch=gfx906 opt=O3
	.text
	.amdgcn_target "amdgcn-amd-amdhsa--gfx906"
	.amdhsa_code_object_version 6
	.protected	fft_rtc_fwd_len1600_factors_10_16_10_wgs_200_tpt_100_halfLds_sp_op_CI_CI_sbrr_dirReg ; -- Begin function fft_rtc_fwd_len1600_factors_10_16_10_wgs_200_tpt_100_halfLds_sp_op_CI_CI_sbrr_dirReg
	.globl	fft_rtc_fwd_len1600_factors_10_16_10_wgs_200_tpt_100_halfLds_sp_op_CI_CI_sbrr_dirReg
	.p2align	8
	.type	fft_rtc_fwd_len1600_factors_10_16_10_wgs_200_tpt_100_halfLds_sp_op_CI_CI_sbrr_dirReg,@function
fft_rtc_fwd_len1600_factors_10_16_10_wgs_200_tpt_100_halfLds_sp_op_CI_CI_sbrr_dirReg: ; @fft_rtc_fwd_len1600_factors_10_16_10_wgs_200_tpt_100_halfLds_sp_op_CI_CI_sbrr_dirReg
; %bb.0:
	s_load_dwordx4 s[16:19], s[4:5], 0x18
	s_load_dwordx4 s[8:11], s[4:5], 0x0
	;; [unrolled: 1-line block ×3, first 2 shown]
	v_mul_u32_u24_e32 v1, 0x290, v0
	v_lshrrev_b32_e32 v47, 16, v1
	s_waitcnt lgkmcnt(0)
	s_load_dwordx2 s[20:21], s[16:17], 0x0
	s_load_dwordx2 s[2:3], s[18:19], 0x0
	v_cmp_lt_u64_e64 s[0:1], s[10:11], 2
	v_mov_b32_e32 v1, 0
	v_mov_b32_e32 v8, 0
	v_lshl_add_u32 v10, s6, 1, v47
	v_mov_b32_e32 v11, v1
	s_and_b64 vcc, exec, s[0:1]
	v_mov_b32_e32 v9, 0
	s_cbranch_vccnz .LBB0_8
; %bb.1:
	s_load_dwordx2 s[0:1], s[4:5], 0x10
	s_add_u32 s6, s18, 8
	s_addc_u32 s7, s19, 0
	s_add_u32 s22, s16, 8
	s_addc_u32 s23, s17, 0
	v_mov_b32_e32 v8, 0
	s_waitcnt lgkmcnt(0)
	s_add_u32 s24, s0, 8
	v_mov_b32_e32 v9, 0
	v_mov_b32_e32 v4, v8
	s_addc_u32 s25, s1, 0
	s_mov_b64 s[26:27], 1
	v_mov_b32_e32 v5, v9
.LBB0_2:                                ; =>This Inner Loop Header: Depth=1
	s_load_dwordx2 s[28:29], s[24:25], 0x0
                                        ; implicit-def: $vgpr6_vgpr7
	s_waitcnt lgkmcnt(0)
	v_or_b32_e32 v2, s29, v11
	v_cmp_ne_u64_e32 vcc, 0, v[1:2]
	s_and_saveexec_b64 s[0:1], vcc
	s_xor_b64 s[30:31], exec, s[0:1]
	s_cbranch_execz .LBB0_4
; %bb.3:                                ;   in Loop: Header=BB0_2 Depth=1
	v_cvt_f32_u32_e32 v2, s28
	v_cvt_f32_u32_e32 v3, s29
	s_sub_u32 s0, 0, s28
	s_subb_u32 s1, 0, s29
	v_mac_f32_e32 v2, 0x4f800000, v3
	v_rcp_f32_e32 v2, v2
	v_mul_f32_e32 v2, 0x5f7ffffc, v2
	v_mul_f32_e32 v3, 0x2f800000, v2
	v_trunc_f32_e32 v3, v3
	v_mac_f32_e32 v2, 0xcf800000, v3
	v_cvt_u32_f32_e32 v3, v3
	v_cvt_u32_f32_e32 v2, v2
	v_mul_lo_u32 v6, s0, v3
	v_mul_hi_u32 v7, s0, v2
	v_mul_lo_u32 v13, s1, v2
	v_mul_lo_u32 v12, s0, v2
	v_add_u32_e32 v6, v7, v6
	v_add_u32_e32 v6, v6, v13
	v_mul_hi_u32 v7, v2, v12
	v_mul_lo_u32 v13, v2, v6
	v_mul_hi_u32 v15, v2, v6
	v_mul_hi_u32 v14, v3, v12
	v_mul_lo_u32 v12, v3, v12
	v_mul_hi_u32 v16, v3, v6
	v_add_co_u32_e32 v7, vcc, v7, v13
	v_addc_co_u32_e32 v13, vcc, 0, v15, vcc
	v_mul_lo_u32 v6, v3, v6
	v_add_co_u32_e32 v7, vcc, v7, v12
	v_addc_co_u32_e32 v7, vcc, v13, v14, vcc
	v_addc_co_u32_e32 v12, vcc, 0, v16, vcc
	v_add_co_u32_e32 v6, vcc, v7, v6
	v_addc_co_u32_e32 v7, vcc, 0, v12, vcc
	v_add_co_u32_e32 v2, vcc, v2, v6
	v_addc_co_u32_e32 v3, vcc, v3, v7, vcc
	v_mul_lo_u32 v6, s0, v3
	v_mul_hi_u32 v7, s0, v2
	v_mul_lo_u32 v12, s1, v2
	v_mul_lo_u32 v13, s0, v2
	v_add_u32_e32 v6, v7, v6
	v_add_u32_e32 v6, v6, v12
	v_mul_lo_u32 v14, v2, v6
	v_mul_hi_u32 v15, v2, v13
	v_mul_hi_u32 v16, v2, v6
	;; [unrolled: 1-line block ×3, first 2 shown]
	v_mul_lo_u32 v13, v3, v13
	v_mul_hi_u32 v7, v3, v6
	v_add_co_u32_e32 v14, vcc, v15, v14
	v_addc_co_u32_e32 v15, vcc, 0, v16, vcc
	v_mul_lo_u32 v6, v3, v6
	v_add_co_u32_e32 v13, vcc, v14, v13
	v_addc_co_u32_e32 v12, vcc, v15, v12, vcc
	v_addc_co_u32_e32 v7, vcc, 0, v7, vcc
	v_add_co_u32_e32 v6, vcc, v12, v6
	v_addc_co_u32_e32 v7, vcc, 0, v7, vcc
	v_add_co_u32_e32 v6, vcc, v2, v6
	v_addc_co_u32_e32 v7, vcc, v3, v7, vcc
	v_mad_u64_u32 v[2:3], s[0:1], v10, v7, 0
	v_mul_hi_u32 v12, v10, v6
	v_add_co_u32_e32 v12, vcc, v12, v2
	v_addc_co_u32_e32 v13, vcc, 0, v3, vcc
	v_mad_u64_u32 v[2:3], s[0:1], v11, v6, 0
	v_mad_u64_u32 v[6:7], s[0:1], v11, v7, 0
	v_add_co_u32_e32 v2, vcc, v12, v2
	v_addc_co_u32_e32 v2, vcc, v13, v3, vcc
	v_addc_co_u32_e32 v3, vcc, 0, v7, vcc
	v_add_co_u32_e32 v6, vcc, v2, v6
	v_addc_co_u32_e32 v7, vcc, 0, v3, vcc
	v_mul_lo_u32 v12, s29, v6
	v_mul_lo_u32 v13, s28, v7
	v_mad_u64_u32 v[2:3], s[0:1], s28, v6, 0
	v_add3_u32 v3, v3, v13, v12
	v_sub_u32_e32 v12, v11, v3
	v_mov_b32_e32 v13, s29
	v_sub_co_u32_e32 v2, vcc, v10, v2
	v_subb_co_u32_e64 v12, s[0:1], v12, v13, vcc
	v_subrev_co_u32_e64 v13, s[0:1], s28, v2
	v_subbrev_co_u32_e64 v12, s[0:1], 0, v12, s[0:1]
	v_cmp_le_u32_e64 s[0:1], s29, v12
	v_cndmask_b32_e64 v14, 0, -1, s[0:1]
	v_cmp_le_u32_e64 s[0:1], s28, v13
	v_cndmask_b32_e64 v13, 0, -1, s[0:1]
	v_cmp_eq_u32_e64 s[0:1], s29, v12
	v_cndmask_b32_e64 v12, v14, v13, s[0:1]
	v_add_co_u32_e64 v13, s[0:1], 2, v6
	v_addc_co_u32_e64 v14, s[0:1], 0, v7, s[0:1]
	v_add_co_u32_e64 v15, s[0:1], 1, v6
	v_addc_co_u32_e64 v16, s[0:1], 0, v7, s[0:1]
	v_subb_co_u32_e32 v3, vcc, v11, v3, vcc
	v_cmp_ne_u32_e64 s[0:1], 0, v12
	v_cmp_le_u32_e32 vcc, s29, v3
	v_cndmask_b32_e64 v12, v16, v14, s[0:1]
	v_cndmask_b32_e64 v14, 0, -1, vcc
	v_cmp_le_u32_e32 vcc, s28, v2
	v_cndmask_b32_e64 v2, 0, -1, vcc
	v_cmp_eq_u32_e32 vcc, s29, v3
	v_cndmask_b32_e32 v2, v14, v2, vcc
	v_cmp_ne_u32_e32 vcc, 0, v2
	v_cndmask_b32_e64 v2, v15, v13, s[0:1]
	v_cndmask_b32_e32 v7, v7, v12, vcc
	v_cndmask_b32_e32 v6, v6, v2, vcc
.LBB0_4:                                ;   in Loop: Header=BB0_2 Depth=1
	s_andn2_saveexec_b64 s[0:1], s[30:31]
	s_cbranch_execz .LBB0_6
; %bb.5:                                ;   in Loop: Header=BB0_2 Depth=1
	v_cvt_f32_u32_e32 v2, s28
	s_sub_i32 s30, 0, s28
	v_rcp_iflag_f32_e32 v2, v2
	v_mul_f32_e32 v2, 0x4f7ffffe, v2
	v_cvt_u32_f32_e32 v2, v2
	v_mul_lo_u32 v3, s30, v2
	v_mul_hi_u32 v3, v2, v3
	v_add_u32_e32 v2, v2, v3
	v_mul_hi_u32 v2, v10, v2
	v_mul_lo_u32 v3, v2, s28
	v_add_u32_e32 v6, 1, v2
	v_sub_u32_e32 v3, v10, v3
	v_subrev_u32_e32 v7, s28, v3
	v_cmp_le_u32_e32 vcc, s28, v3
	v_cndmask_b32_e32 v3, v3, v7, vcc
	v_cndmask_b32_e32 v2, v2, v6, vcc
	v_add_u32_e32 v6, 1, v2
	v_cmp_le_u32_e32 vcc, s28, v3
	v_cndmask_b32_e32 v6, v2, v6, vcc
	v_mov_b32_e32 v7, v1
.LBB0_6:                                ;   in Loop: Header=BB0_2 Depth=1
	s_or_b64 exec, exec, s[0:1]
	v_mul_lo_u32 v12, v7, s28
	v_mul_lo_u32 v13, v6, s29
	v_mad_u64_u32 v[2:3], s[0:1], v6, s28, 0
	s_load_dwordx2 s[0:1], s[22:23], 0x0
	s_load_dwordx2 s[28:29], s[6:7], 0x0
	v_add3_u32 v3, v3, v13, v12
	v_sub_co_u32_e32 v2, vcc, v10, v2
	v_subb_co_u32_e32 v3, vcc, v11, v3, vcc
	s_waitcnt lgkmcnt(0)
	v_mul_lo_u32 v10, s0, v3
	v_mul_lo_u32 v11, s1, v2
	v_mad_u64_u32 v[8:9], s[0:1], s0, v2, v[8:9]
	v_mul_lo_u32 v3, s28, v3
	v_mul_lo_u32 v12, s29, v2
	v_mad_u64_u32 v[4:5], s[0:1], s28, v2, v[4:5]
	s_add_u32 s26, s26, 1
	s_addc_u32 s27, s27, 0
	s_add_u32 s6, s6, 8
	v_add3_u32 v5, v12, v5, v3
	s_addc_u32 s7, s7, 0
	v_mov_b32_e32 v2, s10
	s_add_u32 s22, s22, 8
	v_mov_b32_e32 v3, s11
	s_addc_u32 s23, s23, 0
	v_cmp_ge_u64_e32 vcc, s[26:27], v[2:3]
	s_add_u32 s24, s24, 8
	v_add3_u32 v9, v11, v9, v10
	s_addc_u32 s25, s25, 0
	s_cbranch_vccnz .LBB0_9
; %bb.7:                                ;   in Loop: Header=BB0_2 Depth=1
	v_mov_b32_e32 v11, v7
	v_mov_b32_e32 v10, v6
	s_branch .LBB0_2
.LBB0_8:
	v_mov_b32_e32 v4, v8
	v_mov_b32_e32 v6, v10
	;; [unrolled: 1-line block ×4, first 2 shown]
.LBB0_9:
	s_load_dwordx2 s[0:1], s[4:5], 0x28
	s_lshl_b64 s[10:11], s[10:11], 3
	s_add_u32 s4, s18, s10
	s_addc_u32 s5, s19, s11
                                        ; implicit-def: $vgpr51
	s_waitcnt lgkmcnt(0)
	v_cmp_gt_u64_e32 vcc, s[0:1], v[6:7]
	v_cmp_le_u64_e64 s[0:1], s[0:1], v[6:7]
	s_and_saveexec_b64 s[6:7], s[0:1]
	s_xor_b64 s[0:1], exec, s[6:7]
; %bb.10:
	s_mov_b32 s6, 0x28f5c29
	v_mul_hi_u32 v1, v0, s6
                                        ; implicit-def: $vgpr8_vgpr9
	v_mul_u32_u24_e32 v1, 0x64, v1
	v_sub_u32_e32 v51, v0, v1
                                        ; implicit-def: $vgpr0
; %bb.11:
	s_or_saveexec_b64 s[6:7], s[0:1]
	s_load_dwordx2 s[4:5], s[4:5], 0x0
                                        ; implicit-def: $vgpr1
                                        ; implicit-def: $vgpr3
                                        ; implicit-def: $vgpr14
                                        ; implicit-def: $vgpr12
                                        ; implicit-def: $vgpr24
                                        ; implicit-def: $vgpr16
                                        ; implicit-def: $vgpr30
                                        ; implicit-def: $vgpr18
                                        ; implicit-def: $vgpr34
                                        ; implicit-def: $vgpr32
                                        ; implicit-def: $vgpr26
                                        ; implicit-def: $vgpr20
                                        ; implicit-def: $vgpr28
                                        ; implicit-def: $vgpr22
                                        ; implicit-def: $vgpr42
                                        ; implicit-def: $vgpr46
                                        ; implicit-def: $vgpr44
                                        ; implicit-def: $vgpr38
                                        ; implicit-def: $vgpr40
                                        ; implicit-def: $vgpr36
	s_xor_b64 exec, exec, s[6:7]
	s_cbranch_execz .LBB0_15
; %bb.12:
	s_add_u32 s0, s16, s10
	s_mov_b32 s10, 0x28f5c29
	s_addc_u32 s1, s17, s11
	v_mul_hi_u32 v1, v0, s10
	s_load_dwordx2 s[0:1], s[0:1], 0x0
                                        ; implicit-def: $vgpr39
                                        ; implicit-def: $vgpr37
                                        ; implicit-def: $vgpr43
                                        ; implicit-def: $vgpr45
                                        ; implicit-def: $vgpr41
	v_mul_u32_u24_e32 v1, 0x64, v1
	v_sub_u32_e32 v51, v0, v1
	s_waitcnt lgkmcnt(0)
	v_mul_lo_u32 v12, s1, v6
	v_mad_u64_u32 v[0:1], s[10:11], s20, v51, 0
	v_mul_lo_u32 v13, s0, v7
	v_mad_u64_u32 v[2:3], s[0:1], s0, v6, 0
	v_add_u32_e32 v14, 0xa0, v51
	v_add_u32_e32 v27, 0x320, v51
	v_mad_u64_u32 v[10:11], s[0:1], s21, v51, v[1:2]
	v_add3_u32 v3, v3, v13, v12
	v_lshlrev_b64 v[2:3], 3, v[2:3]
	v_mov_b32_e32 v1, v10
	v_mov_b32_e32 v10, s13
	v_add_co_u32_e64 v12, s[0:1], s12, v2
	v_addc_co_u32_e64 v13, s[0:1], v10, v3, s[0:1]
	v_mad_u64_u32 v[10:11], s[0:1], s20, v14, 0
	v_lshlrev_b64 v[2:3], 3, v[8:9]
	v_lshlrev_b64 v[0:1], 3, v[0:1]
	v_add_co_u32_e64 v8, s[0:1], v12, v2
	v_mov_b32_e32 v2, v11
	v_addc_co_u32_e64 v9, s[0:1], v13, v3, s[0:1]
	v_mad_u64_u32 v[2:3], s[0:1], s21, v14, v[2:3]
	v_add_u32_e32 v3, 0x140, v51
	v_mad_u64_u32 v[12:13], s[0:1], s20, v3, 0
	v_add_co_u32_e64 v15, s[0:1], v8, v0
	v_mov_b32_e32 v11, v2
	v_mov_b32_e32 v2, v13
	v_addc_co_u32_e64 v16, s[0:1], v9, v1, s[0:1]
	v_mad_u64_u32 v[2:3], s[0:1], s21, v3, v[2:3]
	v_add_u32_e32 v3, 0x1e0, v51
	v_lshlrev_b64 v[0:1], 3, v[10:11]
	v_mad_u64_u32 v[10:11], s[0:1], s20, v3, 0
	v_add_co_u32_e64 v17, s[0:1], v8, v0
	v_mov_b32_e32 v13, v2
	v_mov_b32_e32 v2, v11
	v_addc_co_u32_e64 v18, s[0:1], v9, v1, s[0:1]
	v_mad_u64_u32 v[2:3], s[0:1], s21, v3, v[2:3]
	v_lshlrev_b64 v[0:1], 3, v[12:13]
	v_add_co_u32_e64 v19, s[0:1], v8, v0
	v_mov_b32_e32 v11, v2
	v_or_b32_e32 v2, 0x280, v51
	v_addc_co_u32_e64 v20, s[0:1], v9, v1, s[0:1]
	v_mad_u64_u32 v[21:22], s[0:1], s20, v2, 0
	v_lshlrev_b64 v[0:1], 3, v[10:11]
	v_add_co_u32_e64 v23, s[0:1], v8, v0
	v_mov_b32_e32 v0, v22
	v_addc_co_u32_e64 v24, s[0:1], v9, v1, s[0:1]
	v_mad_u64_u32 v[10:11], s[0:1], s21, v2, v[0:1]
	global_load_dwordx2 v[0:1], v[15:16], off
	global_load_dwordx2 v[2:3], v[17:18], off
	;; [unrolled: 1-line block ×4, first 2 shown]
	v_mad_u64_u32 v[25:26], s[0:1], s20, v27, 0
	v_mov_b32_e32 v22, v10
	v_lshlrev_b64 v[15:16], 3, v[21:22]
	v_mov_b32_e32 v10, v26
	v_add_u32_e32 v22, 0x3c0, v51
	s_waitcnt vmcnt(0)
	v_mad_u64_u32 v[17:18], s[0:1], s21, v27, v[10:11]
	v_mad_u64_u32 v[18:19], s[0:1], s20, v22, 0
	v_add_co_u32_e64 v20, s[0:1], v8, v15
	v_mov_b32_e32 v10, v19
	v_addc_co_u32_e64 v21, s[0:1], v9, v16, s[0:1]
	v_mov_b32_e32 v26, v17
	v_mad_u64_u32 v[22:23], s[0:1], s21, v22, v[10:11]
	v_add_u32_e32 v17, 0x460, v51
	v_mad_u64_u32 v[23:24], s[0:1], s20, v17, 0
	v_lshlrev_b64 v[15:16], 3, v[25:26]
	v_mov_b32_e32 v19, v22
	v_add_co_u32_e64 v25, s[0:1], v8, v15
	v_mov_b32_e32 v10, v24
	v_addc_co_u32_e64 v26, s[0:1], v9, v16, s[0:1]
	v_lshlrev_b64 v[15:16], 3, v[18:19]
	v_mad_u64_u32 v[17:18], s[0:1], s21, v17, v[10:11]
	v_or_b32_e32 v22, 0x500, v51
	v_mad_u64_u32 v[18:19], s[0:1], s20, v22, 0
	v_add_co_u32_e64 v27, s[0:1], v8, v15
	v_mov_b32_e32 v24, v17
	v_mov_b32_e32 v10, v19
	v_addc_co_u32_e64 v28, s[0:1], v9, v16, s[0:1]
	v_lshlrev_b64 v[15:16], 3, v[23:24]
	v_mad_u64_u32 v[22:23], s[0:1], s21, v22, v[10:11]
	v_add_co_u32_e64 v31, s[0:1], v8, v15
	v_add_u32_e32 v17, 0x5a0, v51
	v_addc_co_u32_e64 v32, s[0:1], v9, v16, s[0:1]
	v_mad_u64_u32 v[33:34], s[0:1], s20, v17, 0
	v_mov_b32_e32 v19, v22
	v_lshlrev_b64 v[15:16], 3, v[18:19]
	v_mov_b32_e32 v10, v34
	v_add_co_u32_e64 v35, s[0:1], v8, v15
	v_addc_co_u32_e64 v36, s[0:1], v9, v16, s[0:1]
	v_mad_u64_u32 v[22:23], s[0:1], s21, v17, v[10:11]
	global_load_dwordx2 v[23:24], v[20:21], off
	global_load_dwordx2 v[15:16], v[25:26], off
	;; [unrolled: 1-line block ×4, first 2 shown]
                                        ; implicit-def: $vgpr21
                                        ; implicit-def: $vgpr27
                                        ; implicit-def: $vgpr25
	v_mov_b32_e32 v34, v22
	v_lshlrev_b64 v[19:20], 3, v[33:34]
	v_add_co_u32_e64 v19, s[0:1], v8, v19
	v_addc_co_u32_e64 v20, s[0:1], v9, v20, s[0:1]
	global_load_dwordx2 v[33:34], v[35:36], off
	global_load_dwordx2 v[31:32], v[19:20], off
	v_cmp_gt_u32_e64 s[0:1], 60, v51
                                        ; implicit-def: $vgpr35
                                        ; implicit-def: $vgpr19
	s_and_saveexec_b64 s[10:11], s[0:1]
	s_cbranch_execz .LBB0_14
; %bb.13:
	v_add_u32_e32 v25, 0x64, v51
	v_mad_u64_u32 v[19:20], s[0:1], s20, v25, 0
	v_add_u32_e32 v27, 0x104, v51
	v_mad_u64_u32 v[21:22], s[0:1], s20, v27, 0
	v_mov_b32_e32 v10, v20
	v_mad_u64_u32 v[25:26], s[0:1], s21, v25, v[10:11]
	v_mov_b32_e32 v10, v22
	v_add_u32_e32 v28, 0x1a4, v51
	v_mov_b32_e32 v20, v25
	v_mad_u64_u32 v[25:26], s[0:1], s21, v27, v[10:11]
	v_mad_u64_u32 v[26:27], s[0:1], s20, v28, 0
	v_lshlrev_b64 v[19:20], 3, v[19:20]
	v_mov_b32_e32 v22, v25
	v_add_co_u32_e64 v35, s[0:1], v8, v19
	v_mov_b32_e32 v10, v27
	v_addc_co_u32_e64 v36, s[0:1], v9, v20, s[0:1]
	v_lshlrev_b64 v[19:20], 3, v[21:22]
	v_mad_u64_u32 v[21:22], s[0:1], s21, v28, v[10:11]
	v_add_u32_e32 v22, 0x244, v51
	v_mad_u64_u32 v[37:38], s[0:1], s20, v22, 0
	v_add_co_u32_e64 v39, s[0:1], v8, v19
	v_mov_b32_e32 v10, v38
	v_addc_co_u32_e64 v40, s[0:1], v9, v20, s[0:1]
	v_mov_b32_e32 v27, v21
	v_mad_u64_u32 v[21:22], s[0:1], s21, v22, v[10:11]
	v_lshlrev_b64 v[19:20], 3, v[26:27]
	v_add_u32_e32 v50, 0x604, v51
	v_add_co_u32_e64 v41, s[0:1], v8, v19
	v_mov_b32_e32 v38, v21
	v_add_u32_e32 v21, 0x2e4, v51
	v_addc_co_u32_e64 v42, s[0:1], v9, v20, s[0:1]
	v_lshlrev_b64 v[19:20], 3, v[37:38]
	v_mad_u64_u32 v[37:38], s[0:1], s20, v21, 0
	v_add_co_u32_e64 v43, s[0:1], v8, v19
	v_mov_b32_e32 v10, v38
	v_addc_co_u32_e64 v44, s[0:1], v9, v20, s[0:1]
	v_mad_u64_u32 v[45:46], s[0:1], s21, v21, v[10:11]
	v_add_u32_e32 v46, 0x384, v51
	v_mad_u64_u32 v[48:49], s[0:1], s20, v46, 0
	v_mov_b32_e32 v38, v45
	global_load_dwordx2 v[25:26], v[35:36], off
	global_load_dwordx2 v[19:20], v[39:40], off
	;; [unrolled: 1-line block ×4, first 2 shown]
	v_mov_b32_e32 v10, v49
	v_lshlrev_b64 v[35:36], 3, v[37:38]
	v_mad_u64_u32 v[37:38], s[0:1], s21, v46, v[10:11]
	v_add_u32_e32 v40, 0x424, v51
	v_mad_u64_u32 v[38:39], s[0:1], s20, v40, 0
	v_add_co_u32_e64 v43, s[0:1], v8, v35
	v_mov_b32_e32 v10, v39
	v_addc_co_u32_e64 v44, s[0:1], v9, v36, s[0:1]
	v_mov_b32_e32 v49, v37
	v_mad_u64_u32 v[39:40], s[0:1], s21, v40, v[10:11]
	v_add_u32_e32 v37, 0x4c4, v51
	v_mad_u64_u32 v[40:41], s[0:1], s20, v37, 0
	v_lshlrev_b64 v[35:36], 3, v[48:49]
	v_add_co_u32_e64 v45, s[0:1], v8, v35
	v_mov_b32_e32 v10, v41
	v_addc_co_u32_e64 v46, s[0:1], v9, v36, s[0:1]
	v_lshlrev_b64 v[35:36], 3, v[38:39]
	v_mad_u64_u32 v[37:38], s[0:1], s21, v37, v[10:11]
	v_add_co_u32_e64 v48, s[0:1], v8, v35
	v_mov_b32_e32 v41, v37
	v_add_u32_e32 v37, 0x564, v51
	v_addc_co_u32_e64 v49, s[0:1], v9, v36, s[0:1]
	v_mad_u64_u32 v[52:53], s[0:1], s20, v37, 0
	v_lshlrev_b64 v[35:36], 3, v[40:41]
	v_add_co_u32_e64 v54, s[0:1], v8, v35
	v_mov_b32_e32 v10, v53
	v_addc_co_u32_e64 v55, s[0:1], v9, v36, s[0:1]
	v_mad_u64_u32 v[56:57], s[0:1], s21, v37, v[10:11]
	v_mad_u64_u32 v[57:58], s[0:1], s20, v50, 0
	global_load_dwordx2 v[41:42], v[43:44], off
	global_load_dwordx2 v[35:36], v[45:46], off
	;; [unrolled: 1-line block ×4, first 2 shown]
	v_mov_b32_e32 v53, v56
	v_mov_b32_e32 v10, v58
	v_mad_u64_u32 v[45:46], s[0:1], s21, v50, v[10:11]
	v_lshlrev_b64 v[43:44], 3, v[52:53]
	v_add_co_u32_e64 v48, s[0:1], v8, v43
	v_mov_b32_e32 v58, v45
	v_addc_co_u32_e64 v49, s[0:1], v9, v44, s[0:1]
	v_lshlrev_b64 v[43:44], 3, v[57:58]
	v_add_co_u32_e64 v8, s[0:1], v8, v43
	v_addc_co_u32_e64 v9, s[0:1], v9, v44, s[0:1]
	global_load_dwordx2 v[43:44], v[48:49], off
	global_load_dwordx2 v[45:46], v[8:9], off
.LBB0_14:
	s_or_b64 exec, exec, s[10:11]
.LBB0_15:
	s_or_b64 exec, exec, s[6:7]
	s_waitcnt vmcnt(3)
	v_add_f32_e32 v10, v23, v29
	v_and_b32_e32 v8, 1, v47
	v_fma_f32 v55, -0.5, v10, v0
	v_sub_f32_e32 v10, v13, v23
	s_waitcnt vmcnt(1)
	v_sub_f32_e32 v47, v33, v29
	v_add_f32_e32 v58, v10, v47
	v_add_f32_e32 v10, v13, v33
	;; [unrolled: 1-line block ×3, first 2 shown]
	v_fmac_f32_e32 v0, -0.5, v10
	v_sub_f32_e32 v57, v24, v30
	v_mov_b32_e32 v59, v0
	v_sub_f32_e32 v56, v14, v34
	v_fmac_f32_e32 v59, 0xbf737871, v57
	v_sub_f32_e32 v10, v23, v13
	v_sub_f32_e32 v47, v29, v33
	v_fmac_f32_e32 v0, 0x3f737871, v57
	v_sub_f32_e32 v48, v11, v15
	s_waitcnt vmcnt(0)
	v_sub_f32_e32 v49, v31, v17
	v_fmac_f32_e32 v59, 0x3f167918, v56
	v_add_f32_e32 v10, v10, v47
	v_fmac_f32_e32 v0, 0xbf167918, v56
	v_add_f32_e32 v47, v15, v17
	v_add_f32_e32 v61, v48, v49
	;; [unrolled: 1-line block ×3, first 2 shown]
	v_fmac_f32_e32 v59, 0x3e9e377a, v10
	v_fmac_f32_e32 v0, 0x3e9e377a, v10
	v_add_f32_e32 v10, v2, v11
	v_fma_f32 v47, -0.5, v47, v2
	v_fmac_f32_e32 v2, -0.5, v48
	v_sub_f32_e32 v48, v15, v11
	v_sub_f32_e32 v49, v17, v31
	;; [unrolled: 1-line block ×3, first 2 shown]
	v_add_f32_e32 v48, v48, v49
	v_mov_b32_e32 v49, v2
	v_cmp_eq_u32_e64 s[0:1], 1, v8
	v_add_f32_e32 v8, v9, v23
	v_fmac_f32_e32 v49, 0xbf737871, v60
	v_sub_f32_e32 v62, v12, v32
	v_fmac_f32_e32 v2, 0x3f737871, v60
	v_add_f32_e32 v8, v8, v29
	v_fmac_f32_e32 v49, 0x3f167918, v62
	v_fmac_f32_e32 v2, 0xbf167918, v62
	v_add_f32_e32 v66, v8, v33
	v_add_f32_e32 v8, v10, v15
	v_fmac_f32_e32 v49, 0x3e9e377a, v48
	v_fmac_f32_e32 v2, 0x3e9e377a, v48
	v_sub_f32_e32 v48, v12, v16
	v_sub_f32_e32 v50, v32, v18
	v_add_f32_e32 v8, v8, v17
	v_add_f32_e32 v63, v48, v50
	v_sub_f32_e32 v48, v16, v12
	v_sub_f32_e32 v50, v18, v32
	v_add_f32_e32 v68, v8, v31
	v_add_f32_e32 v8, v16, v18
	;; [unrolled: 1-line block ×4, first 2 shown]
	v_sub_f32_e32 v64, v15, v17
	v_fma_f32 v15, -0.5, v8, v3
	v_fma_f32 v50, -0.5, v50, v3
	v_sub_f32_e32 v65, v11, v31
	v_mov_b32_e32 v31, v15
	v_mov_b32_e32 v52, v50
	;; [unrolled: 1-line block ×3, first 2 shown]
	v_fmac_f32_e32 v31, 0xbf737871, v65
	v_fmac_f32_e32 v52, 0x3f737871, v64
	;; [unrolled: 1-line block ×3, first 2 shown]
	v_mov_b32_e32 v67, v55
	v_fmac_f32_e32 v17, 0x3f737871, v62
	v_fmac_f32_e32 v31, 0xbf167918, v64
	;; [unrolled: 1-line block ×4, first 2 shown]
	v_mov_b32_e32 v11, 0x640
	v_fmac_f32_e32 v67, 0x3f737871, v56
	v_fmac_f32_e32 v17, 0x3f167918, v60
	;; [unrolled: 1-line block ×5, first 2 shown]
	v_cndmask_b32_e64 v48, 0, v11, s[0:1]
	s_mov_b32 s0, 0x3f737871
	v_fmac_f32_e32 v67, 0x3f167918, v57
	v_fmac_f32_e32 v17, 0x3e9e377a, v61
	v_mul_f32_e32 v69, 0x3f167918, v31
	v_mul_f32_e32 v70, 0x3e9e377a, v49
	;; [unrolled: 1-line block ×3, first 2 shown]
	v_mul_u32_u24_e32 v53, 10, v51
	v_fmac_f32_e32 v47, 0xbf737871, v62
	v_fmac_f32_e32 v67, 0x3e9e377a, v58
	;; [unrolled: 1-line block ×4, first 2 shown]
	v_fma_f32 v71, v50, s0, -v10
	v_lshl_add_u32 v54, v53, 2, 0
	v_fmac_f32_e32 v47, 0xbf167918, v60
	v_fmac_f32_e32 v15, 0x3f737871, v65
	v_add_f32_e32 v8, v66, v68
	v_add_f32_e32 v9, v67, v69
	;; [unrolled: 1-line block ×4, first 2 shown]
	v_lshl_add_u32 v53, v48, 2, v54
	v_fmac_f32_e32 v55, 0xbf737871, v56
	v_fmac_f32_e32 v47, 0x3e9e377a, v61
	;; [unrolled: 1-line block ×3, first 2 shown]
	ds_write2_b64 v53, v[8:9], v[10:11] offset1:1
	v_fmac_f32_e32 v55, 0xbf167918, v57
	v_fmac_f32_e32 v15, 0x3e9e377a, v63
	s_mov_b32 s1, 0x3f167918
	v_mul_f32_e32 v10, 0x3f4f1bbd, v47
	v_fmac_f32_e32 v55, 0x3e9e377a, v58
	v_fma_f32 v56, v15, s1, -v10
	v_sub_f32_e32 v8, v67, v69
	v_sub_f32_e32 v9, v59, v70
	;; [unrolled: 1-line block ×3, first 2 shown]
	v_add_f32_e32 v10, v55, v56
	ds_write2_b64 v53, v[10:11], v[8:9] offset0:2 offset1:3
	v_sub_f32_e32 v9, v55, v56
	v_sub_f32_e32 v8, v0, v71
	ds_write_b64 v53, v[8:9] offset:32
	v_sub_f32_e32 v0, v27, v41
	v_sub_f32_e32 v8, v43, v39
	v_add_f32_e32 v0, v0, v8
	v_add_f32_e32 v8, v41, v39
	v_fma_f32 v63, -0.5, v8, v25
	v_sub_f32_e32 v8, v28, v44
	v_mov_b32_e32 v62, v63
	v_fmac_f32_e32 v62, 0x3f737871, v8
	v_sub_f32_e32 v9, v42, v40
	v_fmac_f32_e32 v63, 0xbf737871, v8
	v_fmac_f32_e32 v62, 0x3f167918, v9
	v_fmac_f32_e32 v63, 0xbf167918, v9
	v_fmac_f32_e32 v62, 0x3e9e377a, v0
	v_fmac_f32_e32 v63, 0x3e9e377a, v0
	v_sub_f32_e32 v0, v41, v27
	v_sub_f32_e32 v10, v39, v43
	v_add_f32_e32 v0, v0, v10
	v_add_f32_e32 v10, v27, v43
	v_fma_f32 v65, -0.5, v10, v25
	v_mov_b32_e32 v64, v65
	v_fmac_f32_e32 v64, 0xbf737871, v9
	v_fmac_f32_e32 v65, 0x3f737871, v9
	v_fmac_f32_e32 v64, 0x3f167918, v8
	v_fmac_f32_e32 v65, 0xbf167918, v8
	v_fmac_f32_e32 v64, 0x3e9e377a, v0
	v_fmac_f32_e32 v65, 0x3e9e377a, v0
	v_sub_f32_e32 v0, v21, v35
	v_sub_f32_e32 v8, v45, v37
	v_add_f32_e32 v8, v8, v0
	v_add_f32_e32 v0, v37, v35
	v_fma_f32 v0, -0.5, v0, v19
	v_sub_f32_e32 v9, v22, v46
	v_mov_b32_e32 v55, v0
	v_fmac_f32_e32 v55, 0x3f737871, v9
	v_sub_f32_e32 v10, v36, v38
	v_fmac_f32_e32 v0, 0xbf737871, v9
	v_fmac_f32_e32 v55, 0x3f167918, v10
	v_fmac_f32_e32 v0, 0xbf167918, v10
	v_fmac_f32_e32 v55, 0x3e9e377a, v8
	v_fmac_f32_e32 v0, 0x3e9e377a, v8
	v_sub_f32_e32 v8, v35, v21
	v_sub_f32_e32 v11, v37, v45
	v_add_f32_e32 v8, v11, v8
	v_add_f32_e32 v11, v21, v45
	v_fma_f32 v56, -0.5, v11, v19
	v_mov_b32_e32 v57, v56
	v_fmac_f32_e32 v57, 0xbf737871, v10
	v_fmac_f32_e32 v56, 0x3f737871, v10
	v_fmac_f32_e32 v57, 0x3f167918, v9
	v_fmac_f32_e32 v56, 0xbf167918, v9
	v_fmac_f32_e32 v57, 0x3e9e377a, v8
	v_fmac_f32_e32 v56, 0x3e9e377a, v8
	;; [unrolled: 26-line block ×3, first 2 shown]
	v_mul_f32_e32 v8, 0x3e9e377a, v56
	v_mul_f32_e32 v66, 0x3f4f1bbd, v55
	;; [unrolled: 1-line block ×3, first 2 shown]
	v_fma_f32 v68, v60, s0, -v8
	v_mul_f32_e32 v8, 0x3f4f1bbd, v0
	v_fmac_f32_e32 v66, 0x3f167918, v59
	v_fmac_f32_e32 v67, 0x3e9e377a, v57
	v_fma_f32 v69, v58, s1, -v8
	s_mov_b32 s11, 0xbf737871
	s_mov_b32 s10, 0xbf167918
	v_sub_f32_e32 v8, v62, v66
	v_sub_f32_e32 v9, v64, v67
	;; [unrolled: 1-line block ×4, first 2 shown]
	v_cmp_gt_u32_e64 s[0:1], 60, v51
	s_and_saveexec_b64 s[6:7], s[0:1]
	s_cbranch_execz .LBB0_17
; %bb.16:
	v_add_f32_e32 v25, v25, v27
	v_add_f32_e32 v19, v19, v21
	;; [unrolled: 1-line block ×8, first 2 shown]
	v_sub_f32_e32 v70, v25, v19
	v_add_f32_e32 v69, v63, v69
	v_add_f32_e32 v65, v65, v68
	;; [unrolled: 1-line block ×5, first 2 shown]
	v_add_u32_e32 v19, 0xfa0, v53
	ds_write2_b64 v19, v[62:63], v[64:65] offset1:1
	v_add_u32_e32 v19, 0xfb0, v53
	ds_write2_b64 v19, v[69:70], v[8:9] offset1:1
	ds_write_b64 v53, v[10:11] offset:4032
.LBB0_17:
	s_or_b64 exec, exec, s[6:7]
	v_add_f32_e32 v21, v24, v30
	v_fma_f32 v21, -0.5, v21, v1
	v_sub_f32_e32 v13, v13, v33
	v_mov_b32_e32 v25, v21
	v_fmac_f32_e32 v25, 0xbf737871, v13
	v_sub_f32_e32 v23, v23, v29
	v_sub_f32_e32 v29, v14, v24
	;; [unrolled: 1-line block ×3, first 2 shown]
	v_fmac_f32_e32 v21, 0x3f737871, v13
	v_fmac_f32_e32 v25, 0xbf167918, v23
	v_add_f32_e32 v29, v29, v33
	v_fmac_f32_e32 v21, 0x3f167918, v23
	v_fmac_f32_e32 v25, 0x3e9e377a, v29
	;; [unrolled: 1-line block ×3, first 2 shown]
	v_add_f32_e32 v29, v14, v34
	v_add_f32_e32 v19, v1, v14
	v_fmac_f32_e32 v1, -0.5, v29
	v_mov_b32_e32 v29, v1
	v_add_f32_e32 v19, v19, v24
	v_fmac_f32_e32 v29, 0x3f737871, v23
	v_sub_f32_e32 v14, v24, v14
	v_sub_f32_e32 v24, v30, v34
	v_fmac_f32_e32 v1, 0xbf737871, v23
	v_fmac_f32_e32 v29, 0xbf167918, v13
	v_add_f32_e32 v14, v14, v24
	v_fmac_f32_e32 v1, 0x3f167918, v13
	v_fmac_f32_e32 v29, 0x3e9e377a, v14
	;; [unrolled: 1-line block ×3, first 2 shown]
	v_mul_f32_e32 v14, 0x3e9e377a, v50
	v_add_f32_e32 v3, v3, v12
	v_fma_f32 v2, v2, s11, -v14
	v_add_f32_e32 v3, v3, v16
	v_mul_f32_e32 v12, 0xbf167918, v17
	v_add_f32_e32 v65, v1, v2
	v_sub_f32_e32 v70, v1, v2
	v_add_f32_e32 v1, v42, v40
	v_add_f32_e32 v19, v19, v30
	;; [unrolled: 1-line block ×3, first 2 shown]
	v_fmac_f32_e32 v12, 0x3f4f1bbd, v31
	v_mul_f32_e32 v13, 0xbf737871, v49
	v_mul_f32_e32 v14, 0x3f4f1bbd, v15
	v_fma_f32 v1, -0.5, v1, v26
	v_add_f32_e32 v19, v19, v34
	v_add_f32_e32 v3, v3, v32
	;; [unrolled: 1-line block ×3, first 2 shown]
	v_fmac_f32_e32 v13, 0x3e9e377a, v52
	v_fma_f32 v14, v47, s10, -v14
	v_sub_f32_e32 v68, v25, v12
	v_sub_f32_e32 v12, v27, v43
	v_mov_b32_e32 v2, v1
	v_add_f32_e32 v62, v19, v3
	v_add_f32_e32 v64, v29, v13
	;; [unrolled: 1-line block ×3, first 2 shown]
	v_sub_f32_e32 v67, v19, v3
	v_sub_f32_e32 v69, v29, v13
	;; [unrolled: 1-line block ×3, first 2 shown]
	v_fmac_f32_e32 v2, 0xbf737871, v12
	v_sub_f32_e32 v13, v41, v39
	v_sub_f32_e32 v3, v28, v42
	;; [unrolled: 1-line block ×3, first 2 shown]
	v_fmac_f32_e32 v1, 0x3f737871, v12
	v_fmac_f32_e32 v2, 0xbf167918, v13
	v_add_f32_e32 v3, v3, v14
	v_fmac_f32_e32 v1, 0x3f167918, v13
	v_fmac_f32_e32 v2, 0x3e9e377a, v3
	;; [unrolled: 1-line block ×3, first 2 shown]
	v_add_f32_e32 v3, v28, v44
	v_fma_f32 v3, -0.5, v3, v26
	v_mov_b32_e32 v19, v3
	v_fmac_f32_e32 v19, 0x3f737871, v13
	v_fmac_f32_e32 v3, 0xbf737871, v13
	;; [unrolled: 1-line block ×4, first 2 shown]
	v_mul_f32_e32 v12, 0x3e9e377a, v60
	v_fma_f32 v56, v56, s11, -v12
	v_mul_f32_e32 v12, 0x3f4f1bbd, v58
	v_mul_f32_e32 v21, 0xbf167918, v55
	;; [unrolled: 1-line block ×3, first 2 shown]
	v_fma_f32 v57, v0, s10, -v12
	v_lshlrev_b32_e32 v25, 2, v48
	v_lshlrev_b32_e32 v0, 2, v51
	v_add3_u32 v45, 0, v25, v0
	v_mul_i32_i24_e32 v0, 0xffffffdc, v51
	v_add3_u32 v43, v54, v0, v25
	v_add_u32_e32 v0, 0x400, v43
	v_add_u32_e32 v37, 0x600, v43
	;; [unrolled: 1-line block ×6, first 2 shown]
	s_waitcnt lgkmcnt(0)
	s_barrier
	ds_read2_b32 v[49:50], v43 offset0:100 offset1:200
	ds_read2_b32 v[47:48], v0 offset0:44 offset1:144
	;; [unrolled: 1-line block ×7, first 2 shown]
	ds_read_b32 v18, v45
	ds_read_b32 v27, v43 offset:6000
	v_sub_f32_e32 v14, v42, v28
	v_sub_f32_e32 v15, v40, v44
	v_add_f32_e32 v14, v14, v15
	v_fmac_f32_e32 v19, 0x3e9e377a, v14
	v_fmac_f32_e32 v3, 0x3e9e377a, v14
	;; [unrolled: 1-line block ×4, first 2 shown]
	v_sub_f32_e32 v12, v2, v21
	v_sub_f32_e32 v13, v19, v55
	;; [unrolled: 1-line block ×4, first 2 shown]
	v_add_u32_e32 v41, 0x64, v51
	s_waitcnt lgkmcnt(0)
	s_barrier
	ds_write2_b64 v53, v[62:63], v[64:65] offset1:1
	ds_write2_b64 v53, v[66:67], v[68:69] offset0:2 offset1:3
	ds_write_b64 v53, v[70:71] offset:32
	s_and_saveexec_b64 s[6:7], s[0:1]
	s_cbranch_execz .LBB0_19
; %bb.18:
	v_add_f32_e32 v26, v26, v28
	v_add_f32_e32 v20, v20, v22
	;; [unrolled: 1-line block ×9, first 2 shown]
	v_mul_u32_u24_e32 v1, 10, v41
	v_add_f32_e32 v26, v44, v26
	v_add_f32_e32 v22, v46, v20
	v_lshlrev_b32_e32 v1, 2, v1
	v_add_f32_e32 v20, v26, v22
	v_add_f32_e32 v3, v3, v56
	v_add3_u32 v1, 0, v1, v25
	v_sub_f32_e32 v56, v26, v22
	ds_write2_b64 v1, v[20:21], v[2:3] offset1:1
	ds_write2_b64 v1, v[55:56], v[12:13] offset0:2 offset1:3
	ds_write_b64 v1, v[14:15] offset:32
.LBB0_19:
	s_or_b64 exec, exec, s[6:7]
	s_movk_i32 s6, 0xcd
	s_waitcnt lgkmcnt(0)
	s_barrier
	ds_read_b32 v21, v45
	ds_read2_b32 v[60:61], v43 offset0:100 offset1:200
	ds_read2_b32 v[62:63], v0 offset0:44 offset1:144
	;; [unrolled: 1-line block ×7, first 2 shown]
	ds_read_b32 v26, v43 offset:6000
	v_mul_lo_u16_sdwa v0, v51, s6 dst_sel:DWORD dst_unused:UNUSED_PAD src0_sel:BYTE_0 src1_sel:DWORD
	v_lshrrev_b16_e32 v28, 11, v0
	v_mul_lo_u16_e32 v0, 10, v28
	v_sub_u16_e32 v42, v51, v0
	v_mov_b32_e32 v0, 15
	v_mul_u32_u24_sdwa v0, v42, v0 dst_sel:DWORD dst_unused:UNUSED_PAD src0_sel:BYTE_0 src1_sel:DWORD
	v_lshlrev_b32_e32 v40, 3, v0
	global_load_dwordx4 v[0:3], v40, s[8:9] offset:48
	global_load_dwordx4 v[36:39], v40, s[8:9] offset:32
	;; [unrolled: 1-line block ×3, first 2 shown]
	global_load_dwordx4 v[56:59], v40, s[8:9]
	v_mul_u32_u24_e32 v28, 0xa0, v28
	v_or_b32_sdwa v28, v28, v42 dst_sel:DWORD dst_unused:UNUSED_PAD src0_sel:DWORD src1_sel:BYTE_0
	v_lshlrev_b32_e32 v28, 2, v28
	s_waitcnt vmcnt(3)
	v_mul_f32_e32 v72, v23, v1
	s_waitcnt vmcnt(2) lgkmcnt(5)
	v_mul_f32_e32 v46, v64, v37
	s_waitcnt lgkmcnt(4)
	v_fmac_f32_e32 v72, v19, v0
	s_waitcnt vmcnt(0)
	v_mul_f32_e32 v22, v60, v57
	v_fma_f32 v44, v49, v56, -v22
	v_mul_f32_e32 v57, v49, v57
	v_mul_f32_e32 v22, v61, v59
	v_fmac_f32_e32 v57, v60, v56
	v_fma_f32 v56, v50, v58, -v22
	v_mul_f32_e32 v50, v50, v59
	v_mul_f32_e32 v22, v62, v53
	v_fmac_f32_e32 v50, v61, v58
	;; [unrolled: 4-line block ×3, first 2 shown]
	v_fma_f32 v60, v48, v54, -v22
	v_mul_f32_e32 v22, v48, v55
	v_fma_f32 v61, v33, v36, -v46
	v_mul_f32_e32 v62, v33, v37
	v_mul_f32_e32 v33, v65, v39
	v_fmac_f32_e32 v22, v63, v54
	v_fmac_f32_e32 v62, v64, v36
	v_fma_f32 v63, v34, v38, -v33
	v_mul_f32_e32 v64, v34, v39
	v_mul_f32_e32 v33, v19, v1
	v_fmac_f32_e32 v64, v65, v38
	v_fma_f32 v65, v23, v0, -v33
	v_mul_f32_e32 v0, v20, v3
	v_fma_f32 v19, v24, v2, -v0
	global_load_dwordx2 v[0:1], v40, s[8:9] offset:112
	global_load_dwordx4 v[36:39], v40, s[8:9] offset:96
	global_load_dwordx4 v[46:49], v40, s[8:9] offset:80
	;; [unrolled: 1-line block ×3, first 2 shown]
	s_waitcnt vmcnt(0) lgkmcnt(0)
	s_barrier
	v_mul_f32_e32 v33, v70, v37
	v_mul_f32_e32 v23, v66, v53
	v_fma_f32 v40, v31, v52, -v23
	v_mul_f32_e32 v23, v67, v55
	v_mul_f32_e32 v31, v31, v53
	v_fma_f32 v34, v32, v54, -v23
	v_mul_f32_e32 v23, v68, v47
	v_fmac_f32_e32 v31, v66, v52
	v_fma_f32 v52, v29, v46, -v23
	v_mul_f32_e32 v29, v29, v47
	v_fmac_f32_e32 v29, v68, v46
	v_fma_f32 v46, v16, v36, -v33
	v_mul_f32_e32 v16, v16, v37
	v_mul_f32_e32 v33, v71, v39
	;; [unrolled: 1-line block ×4, first 2 shown]
	v_fmac_f32_e32 v16, v70, v36
	v_fma_f32 v36, v17, v38, -v33
	v_mul_f32_e32 v33, v26, v1
	v_fmac_f32_e32 v32, v67, v54
	v_fma_f32 v23, v30, v48, -v23
	v_mul_f32_e32 v30, v30, v49
	v_fma_f32 v37, v27, v0, -v33
	v_mul_f32_e32 v1, v27, v1
	v_fmac_f32_e32 v30, v69, v48
	v_mul_f32_e32 v17, v17, v39
	v_fmac_f32_e32 v1, v26, v0
	v_sub_f32_e32 v27, v50, v32
	v_sub_f32_e32 v39, v44, v40
	;; [unrolled: 1-line block ×7, first 2 shown]
	v_fmac_f32_e32 v17, v71, v38
	v_sub_f32_e32 v0, v18, v19
	v_sub_f32_e32 v23, v60, v23
	;; [unrolled: 1-line block ×4, first 2 shown]
	v_fma_f32 v34, v50, 2.0, -v27
	v_fma_f32 v40, v44, 2.0, -v39
	;; [unrolled: 1-line block ×5, first 2 shown]
	v_sub_f32_e32 v29, v59, v29
	v_fma_f32 v50, v58, 2.0, -v49
	v_sub_f32_e32 v1, v72, v1
	v_fma_f32 v54, v65, 2.0, -v53
	v_fma_f32 v19, v60, 2.0, -v23
	;; [unrolled: 1-line block ×3, first 2 shown]
	v_sub_f32_e32 v17, v64, v17
	v_fma_f32 v52, v59, 2.0, -v29
	v_fma_f32 v55, v72, 2.0, -v1
	v_sub_f32_e32 v56, v0, v33
	v_sub_f32_e32 v47, v40, v47
	v_sub_f32_e32 v57, v44, v48
	v_sub_f32_e32 v16, v39, v16
	v_sub_f32_e32 v60, v50, v54
	v_fma_f32 v18, v18, 2.0, -v0
	v_sub_f32_e32 v32, v63, v36
	v_fma_f32 v38, v64, 2.0, -v17
	v_fma_f32 v0, v0, 2.0, -v56
	v_sub_f32_e32 v17, v26, v17
	v_fma_f32 v58, v40, 2.0, -v47
	v_fma_f32 v37, v44, 2.0, -v57
	v_add_f32_e32 v44, v31, v46
	v_fma_f32 v59, v39, 2.0, -v16
	v_sub_f32_e32 v61, v52, v55
	v_fma_f32 v39, v50, 2.0, -v60
	v_sub_f32_e32 v1, v49, v1
	v_fma_f32 v36, v63, 2.0, -v32
	v_add_f32_e32 v32, v27, v32
	v_fma_f32 v26, v26, 2.0, -v17
	v_fma_f32 v31, v31, 2.0, -v44
	;; [unrolled: 1-line block ×3, first 2 shown]
	v_add_f32_e32 v62, v29, v53
	v_fma_f32 v49, v49, 2.0, -v1
	v_mov_b32_e32 v63, v0
	v_sub_f32_e32 v40, v58, v39
	v_mov_b32_e32 v39, v59
	v_fma_f32 v27, v27, 2.0, -v32
	v_fma_f32 v29, v29, 2.0, -v62
	v_fmac_f32_e32 v63, 0xbf3504f3, v26
	v_sub_f32_e32 v54, v37, v46
	v_fmac_f32_e32 v39, 0xbf3504f3, v49
	v_mov_b32_e32 v46, v31
	v_mul_f32_e32 v50, 0x3f3504f3, v27
	v_fmac_f32_e32 v63, 0xbf3504f3, v27
	v_mov_b32_e32 v27, v56
	v_fmac_f32_e32 v46, 0xbf3504f3, v29
	v_fmac_f32_e32 v39, 0xbf3504f3, v29
	v_sub_f32_e32 v29, v47, v61
	v_fma_f32 v0, v0, 2.0, -v63
	v_fmac_f32_e32 v27, 0x3f3504f3, v17
	v_fma_f32 v61, v47, 2.0, -v29
	v_mov_b32_e32 v47, v16
	v_sub_f32_e32 v19, v18, v19
	v_sub_f32_e32 v38, v34, v38
	v_fmac_f32_e32 v27, 0xbf3504f3, v32
	v_fmac_f32_e32 v46, 0x3f3504f3, v49
	v_fma_f32 v55, v59, 2.0, -v39
	v_fmac_f32_e32 v47, 0x3f3504f3, v1
	v_mov_b32_e32 v49, v44
	v_mov_b32_e32 v65, v0
	v_sub_f32_e32 v36, v30, v36
	v_mul_f32_e32 v48, 0x3f3504f3, v26
	v_sub_f32_e32 v26, v19, v38
	v_mul_f32_e32 v52, 0x3f3504f3, v17
	v_fma_f32 v17, v56, 2.0, -v27
	v_fma_f32 v56, v31, 2.0, -v46
	v_add_f32_e32 v31, v57, v60
	v_fmac_f32_e32 v49, 0x3f3504f3, v62
	v_fmac_f32_e32 v47, 0xbf3504f3, v62
	;; [unrolled: 1-line block ×3, first 2 shown]
	v_fma_f32 v18, v18, 2.0, -v19
	v_fma_f32 v30, v30, 2.0, -v36
	v_fma_f32 v19, v19, 2.0, -v26
	v_fma_f32 v64, v57, 2.0, -v31
	v_fmac_f32_e32 v49, 0x3f3504f3, v1
	v_fma_f32 v57, v16, 2.0, -v47
	v_fmac_f32_e32 v65, 0xbec3ef15, v56
	v_mov_b32_e32 v1, v17
	v_sub_f32_e32 v30, v18, v30
	v_mul_f32_e32 v53, 0x3f3504f3, v32
	v_fma_f32 v32, v58, 2.0, -v40
	v_fma_f32 v58, v44, 2.0, -v49
	;; [unrolled: 1-line block ×3, first 2 shown]
	v_mov_b32_e32 v0, v19
	v_fmac_f32_e32 v1, 0xbec3ef15, v57
	v_fma_f32 v18, v18, 2.0, -v30
	v_fmac_f32_e32 v0, 0xbf3504f3, v61
	v_fmac_f32_e32 v1, 0xbf6c835e, v58
	v_sub_f32_e32 v32, v18, v32
	v_fmac_f32_e32 v0, 0xbf3504f3, v64
	v_fma_f32 v67, v17, 2.0, -v1
	v_mov_b32_e32 v17, v63
	v_fma_f32 v44, v18, 2.0, -v32
	v_mul_f32_e32 v60, 0x3f3504f3, v64
	v_fma_f32 v64, v19, 2.0, -v0
	v_fmac_f32_e32 v17, 0x3ec3ef15, v39
	v_mov_b32_e32 v18, v26
	v_mov_b32_e32 v19, v27
	v_fmac_f32_e32 v17, 0xbf6c835e, v46
	v_fmac_f32_e32 v18, 0x3f3504f3, v29
	;; [unrolled: 1-line block ×3, first 2 shown]
	v_sub_f32_e32 v16, v30, v54
	v_fma_f32 v68, v63, 2.0, -v17
	v_fmac_f32_e32 v18, 0xbf3504f3, v31
	v_fmac_f32_e32 v19, 0xbec3ef15, v49
	v_add3_u32 v63, 0, v28, v25
	v_fma_f32 v30, v30, 2.0, -v16
	v_fma_f32 v26, v26, 2.0, -v18
	;; [unrolled: 1-line block ×3, first 2 shown]
	ds_write2_b32 v63, v44, v66 offset1:10
	ds_write2_b32 v63, v64, v67 offset0:20 offset1:30
	ds_write2_b32 v63, v30, v68 offset0:40 offset1:50
	;; [unrolled: 1-line block ×7, first 2 shown]
	v_add_u32_e32 v64, 0x200, v43
	v_add_u32_e32 v65, 0x700, v43
	;; [unrolled: 1-line block ×3, first 2 shown]
	v_mul_f32_e32 v59, 0x3f3504f3, v61
	v_mul_f32_e32 v61, 0x3f3504f3, v29
	;; [unrolled: 1-line block ×3, first 2 shown]
	s_waitcnt lgkmcnt(0)
	s_barrier
	ds_read_b32 v42, v45
	ds_read2_b32 v[25:26], v64 offset0:32 offset1:192
	ds_read2_b32 v[27:28], v65 offset0:32 offset1:192
	;; [unrolled: 1-line block ×4, first 2 shown]
	ds_read_b32 v44, v43 offset:5760
	s_and_saveexec_b64 s[6:7], s[0:1]
	s_cbranch_execz .LBB0_21
; %bb.20:
	v_add_u32_e32 v8, 0x600, v43
	ds_read2_b32 v[16:17], v8 offset0:36 offset1:196
	v_add_u32_e32 v8, 0xb00, v43
	v_add_u32_e32 v0, 0x100, v43
	ds_read2_b32 v[18:19], v8 offset0:36 offset1:196
	v_add_u32_e32 v8, 0x1000, v43
	v_add_u32_e32 v10, 0x1500, v43
	ds_read2_b32 v[0:1], v0 offset0:36 offset1:196
	ds_read2_b32 v[8:9], v8 offset0:36 offset1:196
	;; [unrolled: 1-line block ×3, first 2 shown]
.LBB0_21:
	s_or_b64 exec, exec, s[6:7]
	v_mul_f32_e32 v3, v24, v3
	v_fmac_f32_e32 v3, v20, v2
	v_sub_f32_e32 v2, v21, v3
	v_fma_f32 v3, v21, 2.0, -v2
	v_fma_f32 v20, v22, 2.0, -v33
	v_sub_f32_e32 v20, v3, v20
	v_add_f32_e32 v21, v2, v23
	v_fma_f32 v3, v3, 2.0, -v20
	v_fma_f32 v2, v2, 2.0, -v21
	;; [unrolled: 1-line block ×3, first 2 shown]
	v_sub_f32_e32 v22, v3, v22
	v_sub_f32_e32 v23, v2, v50
	v_add_f32_e32 v33, v21, v53
	v_fma_f32 v3, v3, 2.0, -v22
	v_add_f32_e32 v23, v48, v23
	v_add_f32_e32 v33, v52, v33
	v_fma_f32 v34, v37, 2.0, -v54
	v_fma_f32 v2, v2, 2.0, -v23
	;; [unrolled: 1-line block ×3, first 2 shown]
	v_sub_f32_e32 v34, v3, v34
	v_add_f32_e32 v24, v20, v36
	v_fma_f32 v35, v3, 2.0, -v34
	v_mov_b32_e32 v36, v2
	v_mov_b32_e32 v3, v21
	v_fmac_f32_e32 v36, 0xbf6c835e, v56
	v_fmac_f32_e32 v3, 0xbec3ef15, v58
	v_fma_f32 v20, v20, 2.0, -v24
	v_fmac_f32_e32 v36, 0x3ec3ef15, v55
	v_fmac_f32_e32 v3, 0x3f6c835e, v57
	v_fma_f32 v37, v2, 2.0, -v36
	v_sub_f32_e32 v2, v20, v60
	v_fma_f32 v48, v21, 2.0, -v3
	v_mov_b32_e32 v21, v23
	v_add_f32_e32 v2, v59, v2
	v_fmac_f32_e32 v21, 0x3ec3ef15, v46
	v_fma_f32 v38, v20, 2.0, -v2
	v_add_f32_e32 v20, v22, v40
	v_fmac_f32_e32 v21, 0x3f6c835e, v39
	v_fma_f32 v40, v22, 2.0, -v20
	v_fma_f32 v39, v23, 2.0, -v21
	v_add_f32_e32 v22, v24, v62
	v_mov_b32_e32 v23, v33
	v_add_f32_e32 v22, v61, v22
	v_fmac_f32_e32 v23, 0x3f6c835e, v49
	v_fma_f32 v24, v24, 2.0, -v22
	v_fmac_f32_e32 v23, 0x3ec3ef15, v47
	v_fma_f32 v33, v33, 2.0, -v23
	s_waitcnt lgkmcnt(0)
	s_barrier
	ds_write2_b32 v63, v35, v37 offset1:10
	ds_write2_b32 v63, v38, v48 offset0:20 offset1:30
	ds_write2_b32 v63, v40, v39 offset0:40 offset1:50
	;; [unrolled: 1-line block ×7, first 2 shown]
	v_add_u32_e32 v24, 0xc00, v43
	s_waitcnt lgkmcnt(0)
	s_barrier
	ds_read2_b32 v[33:34], v64 offset0:32 offset1:192
	ds_read2_b32 v[35:36], v65 offset0:32 offset1:192
	;; [unrolled: 1-line block ×4, first 2 shown]
	ds_read_b32 v24, v45
	ds_read_b32 v45, v43 offset:5760
	s_and_saveexec_b64 s[6:7], s[0:1]
	s_cbranch_execz .LBB0_23
; %bb.22:
	v_add_u32_e32 v12, 0x600, v43
	ds_read2_b32 v[20:21], v12 offset0:36 offset1:196
	v_add_u32_e32 v12, 0xb00, v43
	v_add_u32_e32 v2, 0x100, v43
	ds_read2_b32 v[22:23], v12 offset0:36 offset1:196
	v_add_u32_e32 v12, 0x1000, v43
	v_add_u32_e32 v14, 0x1500, v43
	ds_read2_b32 v[2:3], v2 offset0:36 offset1:196
	ds_read2_b32 v[12:13], v12 offset0:36 offset1:196
	;; [unrolled: 1-line block ×3, first 2 shown]
.LBB0_23:
	s_or_b64 exec, exec, s[6:7]
	s_and_saveexec_b64 s[6:7], vcc
	s_cbranch_execz .LBB0_26
; %bb.24:
	v_mul_u32_u24_e32 v43, 9, v51
	v_lshlrev_b32_e32 v43, 3, v43
	global_load_dwordx4 v[46:49], v43, s[8:9] offset:1200
	global_load_dwordx4 v[52:55], v43, s[8:9] offset:1216
	;; [unrolled: 1-line block ×4, first 2 shown]
	global_load_dwordx2 v[64:65], v43, s[8:9] offset:1264
	v_mul_lo_u32 v43, s5, v6
	v_mul_lo_u32 v50, s4, v7
	v_mad_u64_u32 v[6:7], s[4:5], s4, v6, 0
	s_mov_b32 s7, 0xbf167918
	s_mov_b32 s4, 0x3f167918
	v_add3_u32 v7, v7, v50, v43
	s_mov_b32 s10, 0xcccccccd
	v_lshlrev_b64 v[6:7], 3, v[6:7]
	v_lshlrev_b64 v[4:5], 3, v[4:5]
	s_mov_b32 s5, 0x3f737871
	s_mov_b32 s6, 0xbf737871
	s_waitcnt vmcnt(4)
	v_mul_f32_e32 v43, v26, v49
	s_waitcnt vmcnt(3)
	v_mul_f32_e32 v50, v28, v55
	;; [unrolled: 2-line block ×4, first 2 shown]
	s_waitcnt lgkmcnt(5)
	v_mul_f32_e32 v49, v34, v49
	s_waitcnt lgkmcnt(4)
	v_mul_f32_e32 v68, v35, v53
	;; [unrolled: 2-line block ×3, first 2 shown]
	s_waitcnt vmcnt(0) lgkmcnt(0)
	v_mul_f32_e32 v70, v45, v65
	v_mul_f32_e32 v71, v39, v57
	v_fmac_f32_e32 v50, v36, v54
	v_fmac_f32_e32 v67, v38, v62
	v_mul_f32_e32 v63, v38, v63
	v_mul_f32_e32 v59, v40, v59
	;; [unrolled: 1-line block ×5, first 2 shown]
	v_fmac_f32_e32 v43, v34, v48
	v_fmac_f32_e32 v66, v40, v58
	v_fma_f32 v38, v26, v48, -v49
	v_fma_f32 v40, v27, v52, -v68
	v_fma_f32 v48, v29, v60, -v69
	v_fma_f32 v44, v44, v64, -v70
	v_fma_f32 v49, v31, v56, -v71
	v_add_f32_e32 v27, v50, v67
	v_mul_f32_e32 v55, v36, v55
	v_mul_f32_e32 v72, v33, v47
	;; [unrolled: 1-line block ×3, first 2 shown]
	v_fmac_f32_e32 v65, v45, v64
	v_fmac_f32_e32 v61, v37, v60
	v_fma_f32 v60, -0.5, v27, v24
	v_sub_f32_e32 v27, v48, v40
	v_sub_f32_e32 v64, v49, v44
	v_fma_f32 v34, v28, v54, -v55
	v_fma_f32 v54, v25, v46, -v72
	v_fmac_f32_e32 v53, v35, v52
	v_fmac_f32_e32 v57, v39, v56
	v_add_f32_e32 v64, v27, v64
	v_add_f32_e32 v27, v40, v44
	v_mul_f32_e32 v47, v25, v47
	v_fma_f32 v68, -0.5, v27, v54
	v_sub_f32_e32 v27, v61, v53
	v_sub_f32_e32 v70, v57, v65
	v_fma_f32 v32, v32, v58, -v59
	v_fmac_f32_e32 v47, v33, v46
	v_add_f32_e32 v33, v48, v49
	v_sub_f32_e32 v39, v53, v61
	v_sub_f32_e32 v45, v65, v57
	v_add_f32_e32 v59, v43, v66
	v_add_f32_e32 v70, v27, v70
	;; [unrolled: 1-line block ×3, first 2 shown]
	v_fma_f32 v36, v30, v62, -v63
	v_add_f32_e32 v55, v61, v57
	v_fma_f32 v62, -0.5, v33, v54
	v_add_f32_e32 v33, v39, v45
	v_fma_f32 v45, -0.5, v59, v24
	v_fma_f32 v71, -0.5, v27, v47
	v_add_f32_e32 v24, v24, v43
	v_sub_f32_e32 v29, v40, v48
	v_sub_f32_e32 v31, v44, v49
	;; [unrolled: 1-line block ×5, first 2 shown]
	v_fma_f32 v39, -0.5, v55, v47
	v_mov_b32_e32 v72, v71
	v_add_f32_e32 v24, v24, v50
	v_sub_f32_e32 v52, v40, v44
	v_add_f32_e32 v31, v29, v31
	v_add_f32_e32 v29, v56, v58
	v_mov_b32_e32 v58, v39
	v_fmac_f32_e32 v72, 0xbf737871, v46
	v_fmac_f32_e32 v71, 0x3f737871, v46
	v_add_f32_e32 v24, v24, v67
	v_sub_f32_e32 v30, v38, v32
	v_mov_b32_e32 v55, v60
	v_fmac_f32_e32 v58, 0x3f737871, v52
	v_fmac_f32_e32 v72, 0x3f167918, v52
	;; [unrolled: 1-line block ×4, first 2 shown]
	v_add_f32_e32 v52, v66, v24
	v_add_f32_e32 v24, v53, v47
	v_sub_f32_e32 v25, v43, v50
	v_sub_f32_e32 v26, v66, v67
	;; [unrolled: 1-line block ×3, first 2 shown]
	v_fmac_f32_e32 v55, 0x3f737871, v30
	v_fmac_f32_e32 v60, 0xbf737871, v30
	v_add_f32_e32 v24, v61, v24
	v_sub_f32_e32 v35, v53, v65
	v_add_f32_e32 v26, v25, v26
	v_mov_b32_e32 v56, v62
	v_fmac_f32_e32 v55, 0x3f167918, v28
	v_mov_b32_e32 v63, v45
	v_fmac_f32_e32 v60, 0xbf167918, v28
	v_add_f32_e32 v24, v57, v24
	v_sub_f32_e32 v37, v61, v57
	v_fmac_f32_e32 v56, 0xbf737871, v35
	v_fmac_f32_e32 v58, 0x3f167918, v46
	;; [unrolled: 1-line block ×6, first 2 shown]
	v_add_f32_e32 v47, v65, v24
	v_sub_f32_e32 v24, v38, v34
	v_sub_f32_e32 v26, v32, v36
	v_fmac_f32_e32 v56, 0xbf167918, v37
	v_fmac_f32_e32 v58, 0x3e9e377a, v33
	;; [unrolled: 1-line block ×4, first 2 shown]
	v_add_f32_e32 v30, v24, v26
	v_sub_f32_e32 v26, v34, v38
	v_sub_f32_e32 v28, v36, v32
	v_fmac_f32_e32 v56, 0x3e9e377a, v31
	v_mul_f32_e32 v25, 0x3f4f1bbd, v58
	v_add_f32_e32 v24, v34, v36
	v_add_f32_e32 v28, v26, v28
	v_add_f32_e32 v26, v38, v32
	v_fma_f32 v59, v56, s7, -v25
	v_mov_b32_e32 v69, v68
	v_fmac_f32_e32 v62, 0x3f737871, v35
	v_fma_f32 v53, -0.5, v24, v42
	v_mul_f32_e32 v24, 0x3f4f1bbd, v56
	v_fma_f32 v56, -0.5, v26, v42
	v_fmac_f32_e32 v69, 0x3f737871, v37
	v_fmac_f32_e32 v68, 0xbf737871, v37
	;; [unrolled: 1-line block ×3, first 2 shown]
	v_sub_f32_e32 v37, v50, v67
	v_fma_f32 v50, v58, s4, -v24
	v_mov_b32_e32 v58, v56
	v_fmac_f32_e32 v69, 0xbf167918, v35
	v_fmac_f32_e32 v68, 0x3f167918, v35
	v_sub_f32_e32 v35, v43, v66
	v_mov_b32_e32 v57, v53
	v_fmac_f32_e32 v58, 0x3f737871, v37
	v_fmac_f32_e32 v56, 0xbf737871, v37
	;; [unrolled: 1-line block ×7, first 2 shown]
	v_add_f32_e32 v35, v42, v38
	v_fmac_f32_e32 v39, 0x3e9e377a, v33
	v_add_f32_e32 v34, v35, v34
	v_fmac_f32_e32 v62, 0x3e9e377a, v31
	v_mul_f32_e32 v66, 0x3f167918, v39
	v_add_f32_e32 v34, v34, v36
	v_mul_f32_e32 v46, 0xbf167918, v62
	v_fmac_f32_e32 v66, 0x3f4f1bbd, v62
	v_add_f32_e32 v62, v32, v34
	v_mul_hi_u32 v34, v51, s10
	s_movk_i32 s10, 0xa0
	v_fmac_f32_e32 v68, 0x3e9e377a, v64
	v_add_f32_e32 v32, v40, v54
	v_lshrrev_b32_e32 v34, 7, v34
	v_mul_lo_u32 v34, v34, s10
	v_fmac_f32_e32 v69, 0x3e9e377a, v64
	v_fmac_f32_e32 v71, 0x3e9e377a, v70
	v_mul_f32_e32 v64, 0xbf737871, v68
	v_add_f32_e32 v32, v48, v32
	v_fmac_f32_e32 v45, 0x3e9e377a, v29
	v_fmac_f32_e32 v64, 0x3e9e377a, v71
	v_add_f32_e32 v32, v49, v32
	v_sub_u32_e32 v54, v51, v34
	v_fmac_f32_e32 v63, 0x3e9e377a, v29
	v_sub_f32_e32 v29, v45, v64
	v_fmac_f32_e32 v46, 0x3f4f1bbd, v39
	v_add_f32_e32 v40, v44, v32
	v_add_f32_e32 v39, v45, v64
	v_mad_u64_u32 v[44:45], s[12:13], s2, v54, 0
	v_sub_f32_e32 v31, v60, v46
	v_add_f32_e32 v43, v60, v46
	v_mov_b32_e32 v38, v45
	v_mad_u64_u32 v[45:46], s[12:13], s3, v54, v[38:39]
	v_sub_f32_e32 v32, v62, v40
	v_add_f32_e32 v46, v62, v40
	v_mov_b32_e32 v40, s15
	v_add_co_u32_e32 v48, vcc, s14, v6
	v_addc_co_u32_e32 v40, vcc, v40, v7, vcc
	v_add_u32_e32 v49, 0xa0, v54
	v_add_co_u32_e32 v4, vcc, v48, v4
	v_lshlrev_b64 v[44:45], 3, v[44:45]
	v_mad_u64_u32 v[6:7], s[12:13], s2, v49, 0
	v_addc_co_u32_e32 v5, vcc, v40, v5, vcc
	v_add_co_u32_e32 v44, vcc, v4, v44
	v_sub_f32_e32 v33, v52, v47
	v_add_f32_e32 v47, v52, v47
	v_addc_co_u32_e32 v45, vcc, v5, v45, vcc
	global_store_dwordx2 v[44:45], v[46:47], off
	v_add_u32_e32 v46, 0x140, v54
	v_mad_u64_u32 v[48:49], s[12:13], s3, v49, v[7:8]
	v_mad_u64_u32 v[44:45], s[12:13], s2, v46, 0
	v_mov_b32_e32 v7, v48
	v_lshlrev_b64 v[6:7], 3, v[6:7]
	v_mov_b32_e32 v40, v45
	v_mad_u64_u32 v[45:46], s[12:13], s3, v46, v[40:41]
	v_fmac_f32_e32 v53, 0x3f167918, v37
	v_add_u32_e32 v48, 0x1e0, v54
	v_fmac_f32_e32 v53, 0x3e9e377a, v30
	v_add_co_u32_e32 v6, vcc, v4, v6
	v_mad_u64_u32 v[46:47], s[12:13], s2, v48, 0
	v_add_f32_e32 v42, v53, v66
	v_addc_co_u32_e32 v7, vcc, v5, v7, vcc
	global_store_dwordx2 v[6:7], v[42:43], off
	v_lshlrev_b64 v[6:7], 3, v[44:45]
	v_mul_f32_e32 v65, 0x3f737871, v71
	v_fmac_f32_e32 v56, 0x3e9e377a, v28
	v_fmac_f32_e32 v65, 0x3e9e377a, v68
	v_mov_b32_e32 v40, v47
	v_add_co_u32_e32 v6, vcc, v4, v6
	v_add_f32_e32 v38, v56, v65
	v_mad_u64_u32 v[42:43], s[12:13], s3, v48, v[40:41]
	v_addc_co_u32_e32 v7, vcc, v5, v7, vcc
	v_add_u32_e32 v40, 0x280, v54
	global_store_dwordx2 v[6:7], v[38:39], off
	v_mad_u64_u32 v[38:39], s[12:13], s2, v40, 0
	v_mov_b32_e32 v47, v42
	v_fmac_f32_e32 v72, 0x3e9e377a, v70
	v_mad_u64_u32 v[39:40], s[12:13], s3, v40, v[39:40]
	v_add_u32_e32 v40, 0x320, v54
	v_lshlrev_b64 v[6:7], 3, v[46:47]
	v_mad_u64_u32 v[42:43], s[12:13], s2, v40, 0
	v_mul_f32_e32 v27, 0x3e9e377a, v72
	v_mul_f32_e32 v26, 0x3e9e377a, v69
	v_fma_f32 v73, v69, s6, -v27
	v_fmac_f32_e32 v58, 0x3e9e377a, v28
	v_fma_f32 v61, v72, s5, -v26
	v_add_co_u32_e32 v6, vcc, v4, v6
	v_fmac_f32_e32 v57, 0xbf167918, v37
	v_add_f32_e32 v37, v63, v73
	v_add_f32_e32 v36, v58, v61
	v_addc_co_u32_e32 v7, vcc, v5, v7, vcc
	global_store_dwordx2 v[6:7], v[36:37], off
	v_mov_b32_e32 v36, v43
	v_mad_u64_u32 v[36:37], s[12:13], s3, v40, v[36:37]
	v_lshlrev_b64 v[6:7], 3, v[38:39]
	v_fmac_f32_e32 v57, 0x3e9e377a, v30
	v_add_co_u32_e32 v6, vcc, v4, v6
	v_add_f32_e32 v35, v55, v59
	v_add_f32_e32 v34, v57, v50
	v_addc_co_u32_e32 v7, vcc, v5, v7, vcc
	v_mov_b32_e32 v43, v36
	v_add_u32_e32 v36, 0x3c0, v54
	global_store_dwordx2 v[6:7], v[34:35], off
	v_mad_u64_u32 v[34:35], s[12:13], s2, v36, 0
	v_add_u32_e32 v38, 0x460, v54
	v_lshlrev_b64 v[6:7], 3, v[42:43]
	v_mad_u64_u32 v[35:36], s[12:13], s3, v36, v[35:36]
	v_mad_u64_u32 v[36:37], s[12:13], s2, v38, 0
	v_add_co_u32_e32 v6, vcc, v4, v6
	v_addc_co_u32_e32 v7, vcc, v5, v7, vcc
	global_store_dwordx2 v[6:7], v[32:33], off
	v_mov_b32_e32 v32, v37
	v_mad_u64_u32 v[32:33], s[12:13], s3, v38, v[32:33]
	v_lshlrev_b64 v[6:7], 3, v[34:35]
	v_sub_f32_e32 v30, v53, v66
	v_add_co_u32_e32 v6, vcc, v4, v6
	v_addc_co_u32_e32 v7, vcc, v5, v7, vcc
	v_mov_b32_e32 v37, v32
	v_or_b32_e32 v32, 0x500, v54
	global_store_dwordx2 v[6:7], v[30:31], off
	v_mad_u64_u32 v[30:31], s[12:13], s2, v32, 0
	v_add_u32_e32 v34, 0x5a0, v54
	v_lshlrev_b64 v[6:7], 3, v[36:37]
	v_mad_u64_u32 v[31:32], s[12:13], s3, v32, v[31:32]
	v_mad_u64_u32 v[32:33], s[12:13], s2, v34, 0
	v_add_co_u32_e32 v6, vcc, v4, v6
	v_sub_f32_e32 v28, v56, v65
	v_addc_co_u32_e32 v7, vcc, v5, v7, vcc
	global_store_dwordx2 v[6:7], v[28:29], off
	v_mov_b32_e32 v28, v33
	v_mad_u64_u32 v[28:29], s[12:13], s3, v34, v[28:29]
	v_lshlrev_b64 v[6:7], 3, v[30:31]
	v_sub_f32_e32 v27, v63, v73
	v_add_co_u32_e32 v6, vcc, v4, v6
	v_sub_f32_e32 v26, v58, v61
	v_addc_co_u32_e32 v7, vcc, v5, v7, vcc
	v_mov_b32_e32 v33, v28
	global_store_dwordx2 v[6:7], v[26:27], off
	v_lshlrev_b64 v[6:7], 3, v[32:33]
	v_sub_f32_e32 v25, v55, v59
	v_add_co_u32_e32 v6, vcc, v4, v6
	v_sub_f32_e32 v24, v57, v50
	v_addc_co_u32_e32 v7, vcc, v5, v7, vcc
	global_store_dwordx2 v[6:7], v[24:25], off
	v_add_u32_e32 v6, 0x64, v51
	v_cmp_gt_u32_e32 vcc, s10, v6
	s_and_b64 exec, exec, vcc
	s_cbranch_execz .LBB0_26
; %bb.25:
	v_subrev_u32_e32 v7, 60, v51
	v_cndmask_b32_e64 v7, v7, v41, s[0:1]
	v_mul_i32_i24_e32 v24, 9, v7
	v_mov_b32_e32 v25, 0
	v_lshlrev_b64 v[24:25], 3, v[24:25]
	v_mov_b32_e32 v7, s9
	v_add_co_u32_e32 v40, vcc, s8, v24
	v_addc_co_u32_e32 v41, vcc, v7, v25, vcc
	global_load_dwordx4 v[24:27], v[40:41], off offset:1200
	global_load_dwordx4 v[28:31], v[40:41], off offset:1216
	;; [unrolled: 1-line block ×4, first 2 shown]
	global_load_dwordx2 v[42:43], v[40:41], off offset:1264
	s_waitcnt vmcnt(4)
	v_mul_f32_e32 v7, v3, v25
	s_waitcnt vmcnt(3)
	v_mul_f32_e32 v44, v22, v31
	v_mul_f32_e32 v31, v18, v31
	s_waitcnt vmcnt(2)
	v_mul_f32_e32 v46, v12, v35
	v_mul_f32_e32 v35, v8, v35
	;; [unrolled: 1-line block ×4, first 2 shown]
	s_waitcnt vmcnt(1)
	v_mul_f32_e32 v48, v14, v39
	v_fmac_f32_e32 v31, v22, v30
	v_fmac_f32_e32 v35, v12, v34
	v_mul_f32_e32 v27, v16, v27
	v_mul_f32_e32 v41, v21, v29
	;; [unrolled: 1-line block ×4, first 2 shown]
	v_fma_f32 v1, v1, v24, -v7
	v_fmac_f32_e32 v25, v3, v24
	v_fma_f32 v3, v16, v26, -v40
	v_fma_f32 v16, v18, v30, -v44
	;; [unrolled: 1-line block ×4, first 2 shown]
	v_add_f32_e32 v24, v31, v35
	v_mul_f32_e32 v45, v23, v33
	v_mul_f32_e32 v33, v19, v33
	;; [unrolled: 1-line block ×4, first 2 shown]
	v_fmac_f32_e32 v27, v20, v26
	v_fmac_f32_e32 v29, v21, v28
	v_add_f32_e32 v12, v0, v3
	v_sub_f32_e32 v21, v16, v3
	v_sub_f32_e32 v22, v8, v10
	v_fma_f32 v24, -0.5, v24, v2
	v_fma_f32 v7, v17, v28, -v41
	v_fma_f32 v17, v19, v32, -v45
	v_fmac_f32_e32 v33, v23, v32
	v_fmac_f32_e32 v37, v13, v36
	;; [unrolled: 1-line block ×3, first 2 shown]
	v_add_f32_e32 v13, v16, v8
	v_sub_f32_e32 v18, v3, v16
	v_sub_f32_e32 v19, v10, v8
	v_add_f32_e32 v20, v3, v10
	v_add_f32_e32 v23, v2, v27
	v_sub_f32_e32 v3, v3, v10
	v_sub_f32_e32 v26, v16, v8
	v_add_f32_e32 v12, v12, v16
	v_add_f32_e32 v16, v21, v22
	v_mov_b32_e32 v22, v24
	v_sub_f32_e32 v28, v27, v31
	v_sub_f32_e32 v30, v39, v35
	v_fma_f32 v32, -0.5, v13, v0
	v_add_f32_e32 v13, v18, v19
	v_add_f32_e32 v18, v23, v31
	;; [unrolled: 1-line block ×3, first 2 shown]
	v_fmac_f32_e32 v22, 0xbf737871, v3
	v_fmac_f32_e32 v24, 0x3f737871, v3
	v_add_f32_e32 v12, v18, v35
	v_add_f32_e32 v18, v8, v10
	v_fmac_f32_e32 v22, 0xbf167918, v26
	v_add_f32_e32 v8, v28, v30
	v_fmac_f32_e32 v24, 0x3f167918, v26
	v_fmac_f32_e32 v22, 0x3e9e377a, v8
	;; [unrolled: 1-line block ×3, first 2 shown]
	v_add_f32_e32 v8, v27, v39
	v_fmac_f32_e32 v2, -0.5, v8
	s_waitcnt vmcnt(0)
	v_mul_f32_e32 v49, v15, v43
	v_mul_f32_e32 v43, v11, v43
	v_fmac_f32_e32 v0, -0.5, v20
	v_mov_b32_e32 v28, v2
	v_fmac_f32_e32 v43, v15, v42
	v_sub_f32_e32 v15, v31, v35
	v_mov_b32_e32 v20, v0
	v_fmac_f32_e32 v28, 0x3f737871, v26
	v_sub_f32_e32 v8, v31, v27
	v_sub_f32_e32 v10, v35, v39
	v_fmac_f32_e32 v2, 0xbf737871, v26
	v_fma_f32 v9, v9, v36, -v47
	v_sub_f32_e32 v14, v27, v39
	v_fmac_f32_e32 v0, 0x3f737871, v15
	v_fmac_f32_e32 v20, 0xbf737871, v15
	;; [unrolled: 1-line block ×3, first 2 shown]
	v_add_f32_e32 v8, v8, v10
	v_fmac_f32_e32 v2, 0x3f167918, v3
	v_mov_b32_e32 v19, v32
	v_fmac_f32_e32 v0, 0xbf167918, v14
	v_fmac_f32_e32 v20, 0x3f167918, v14
	;; [unrolled: 1-line block ×4, first 2 shown]
	v_add_f32_e32 v8, v17, v9
	v_fmac_f32_e32 v32, 0xbf737871, v14
	v_fmac_f32_e32 v19, 0x3f737871, v14
	v_fmac_f32_e32 v0, 0x3e9e377a, v16
	v_fmac_f32_e32 v20, 0x3e9e377a, v16
	v_fma_f32 v16, -0.5, v8, v1
	v_fma_f32 v11, v11, v42, -v49
	v_fmac_f32_e32 v32, 0xbf167918, v15
	v_fmac_f32_e32 v19, 0x3f167918, v15
	v_sub_f32_e32 v8, v29, v43
	v_mov_b32_e32 v10, v16
	v_add_f32_e32 v34, v12, v39
	v_fmac_f32_e32 v32, 0x3e9e377a, v13
	v_fmac_f32_e32 v19, 0x3e9e377a, v13
	v_fmac_f32_e32 v10, 0x3f737871, v8
	v_sub_f32_e32 v12, v33, v37
	v_sub_f32_e32 v13, v7, v17
	;; [unrolled: 1-line block ×3, first 2 shown]
	v_fmac_f32_e32 v16, 0xbf737871, v8
	v_fmac_f32_e32 v10, 0x3f167918, v12
	v_add_f32_e32 v13, v13, v14
	v_fmac_f32_e32 v16, 0xbf167918, v12
	v_fmac_f32_e32 v10, 0x3e9e377a, v13
	;; [unrolled: 1-line block ×3, first 2 shown]
	v_add_f32_e32 v13, v7, v11
	v_add_f32_e32 v3, v1, v7
	v_fmac_f32_e32 v1, -0.5, v13
	v_mov_b32_e32 v14, v1
	v_fmac_f32_e32 v14, 0xbf737871, v12
	v_fmac_f32_e32 v1, 0x3f737871, v12
	;; [unrolled: 1-line block ×4, first 2 shown]
	v_add_f32_e32 v8, v25, v29
	v_add_f32_e32 v8, v8, v33
	v_add_f32_e32 v8, v8, v37
	v_add_f32_e32 v26, v8, v43
	v_add_f32_e32 v8, v33, v37
	v_add_f32_e32 v3, v3, v17
	v_fma_f32 v21, -0.5, v8, v25
	v_add_f32_e32 v3, v3, v9
	v_sub_f32_e32 v13, v17, v7
	v_sub_f32_e32 v7, v7, v11
	v_mov_b32_e32 v12, v21
	v_add_f32_e32 v3, v3, v11
	v_sub_f32_e32 v15, v9, v11
	v_fmac_f32_e32 v12, 0xbf737871, v7
	v_sub_f32_e32 v8, v17, v9
	v_sub_f32_e32 v9, v29, v33
	;; [unrolled: 1-line block ×3, first 2 shown]
	v_fmac_f32_e32 v21, 0x3f737871, v7
	v_fmac_f32_e32 v12, 0xbf167918, v8
	v_add_f32_e32 v9, v9, v11
	v_fmac_f32_e32 v21, 0x3f167918, v8
	v_fmac_f32_e32 v12, 0x3e9e377a, v9
	;; [unrolled: 1-line block ×3, first 2 shown]
	v_add_f32_e32 v9, v29, v43
	v_fmac_f32_e32 v25, -0.5, v9
	v_mov_b32_e32 v17, v25
	v_add_f32_e32 v13, v13, v15
	v_fmac_f32_e32 v17, 0x3f737871, v8
	v_sub_f32_e32 v9, v33, v29
	v_sub_f32_e32 v11, v37, v43
	v_fmac_f32_e32 v25, 0xbf737871, v8
	v_fmac_f32_e32 v14, 0x3e9e377a, v13
	;; [unrolled: 1-line block ×4, first 2 shown]
	v_add_f32_e32 v9, v9, v11
	v_fmac_f32_e32 v25, 0x3f167918, v7
	v_fmac_f32_e32 v17, 0x3e9e377a, v9
	;; [unrolled: 1-line block ×3, first 2 shown]
	v_mul_f32_e32 v8, 0x3e9e377a, v1
	v_mul_f32_e32 v33, 0xbf737871, v14
	;; [unrolled: 1-line block ×3, first 2 shown]
	v_fma_f32 v29, v25, s5, -v8
	v_mul_f32_e32 v8, 0x3f4f1bbd, v16
	v_fmac_f32_e32 v33, 0x3e9e377a, v17
	v_mul_f32_e32 v17, 0x3f4f1bbd, v21
	v_add_f32_e32 v7, v18, v3
	v_fmac_f32_e32 v27, 0x3e9e377a, v14
	v_fma_f32 v30, v21, s4, -v8
	v_add_f32_e32 v8, v34, v26
	v_mul_f32_e32 v14, 0x3e9e377a, v25
	v_fma_f32 v35, v16, s7, -v17
	v_sub_f32_e32 v17, v18, v3
	v_sub_f32_e32 v18, v34, v26
	v_mad_u64_u32 v[25:26], s[0:1], s2, v6, 0
	v_fma_f32 v1, v1, s6, -v14
	v_add_f32_e32 v14, v2, v1
	v_sub_f32_e32 v1, v2, v1
	v_mov_b32_e32 v2, v26
	v_mad_u64_u32 v[2:3], s[0:1], s3, v6, v[2:3]
	v_mul_f32_e32 v31, 0xbf167918, v10
	v_mul_f32_e32 v23, 0x3f167918, v12
	v_add_f32_e32 v13, v0, v29
	v_fmac_f32_e32 v31, 0x3f4f1bbd, v12
	v_sub_f32_e32 v0, v0, v29
	v_add_u32_e32 v29, 0x104, v51
	v_mov_b32_e32 v26, v2
	v_fmac_f32_e32 v23, 0x3f4f1bbd, v10
	v_add_f32_e32 v11, v20, v27
	v_add_f32_e32 v10, v22, v31
	;; [unrolled: 1-line block ×3, first 2 shown]
	v_sub_f32_e32 v21, v20, v27
	v_sub_f32_e32 v20, v22, v31
	;; [unrolled: 1-line block ×3, first 2 shown]
	v_mad_u64_u32 v[27:28], s[0:1], s2, v29, 0
	v_lshlrev_b64 v[2:3], 3, v[25:26]
	v_add_f32_e32 v9, v19, v23
	v_add_co_u32_e32 v2, vcc, v4, v2
	v_addc_co_u32_e32 v3, vcc, v5, v3, vcc
	v_mov_b32_e32 v6, v28
	global_store_dwordx2 v[2:3], v[7:8], off
	v_add_u32_e32 v8, 0x1a4, v51
	v_mad_u64_u32 v[25:26], s[0:1], s3, v29, v[6:7]
	v_mad_u64_u32 v[6:7], s[0:1], s2, v8, 0
	v_mov_b32_e32 v28, v25
	v_lshlrev_b64 v[2:3], 3, v[27:28]
	v_mad_u64_u32 v[7:8], s[0:1], s3, v8, v[7:8]
	v_add_u32_e32 v8, 0x244, v51
	v_mad_u64_u32 v[25:26], s[0:1], s2, v8, 0
	v_add_co_u32_e32 v2, vcc, v4, v2
	v_addc_co_u32_e32 v3, vcc, v5, v3, vcc
	global_store_dwordx2 v[2:3], v[9:10], off
	v_lshlrev_b64 v[2:3], 3, v[6:7]
	v_mov_b32_e32 v6, v26
	v_mad_u64_u32 v[6:7], s[0:1], s3, v8, v[6:7]
	v_add_u32_e32 v8, 0x2e4, v51
	v_add_co_u32_e32 v2, vcc, v4, v2
	v_mov_b32_e32 v26, v6
	v_mad_u64_u32 v[6:7], s[0:1], s2, v8, 0
	v_addc_co_u32_e32 v3, vcc, v5, v3, vcc
	v_mad_u64_u32 v[7:8], s[0:1], s3, v8, v[7:8]
	v_add_u32_e32 v10, 0x384, v51
	global_store_dwordx2 v[2:3], v[11:12], off
	v_lshlrev_b64 v[2:3], 3, v[25:26]
	v_mad_u64_u32 v[8:9], s[0:1], s2, v10, 0
	v_add_co_u32_e32 v2, vcc, v4, v2
	v_addc_co_u32_e32 v3, vcc, v5, v3, vcc
	global_store_dwordx2 v[2:3], v[13:14], off
	v_lshlrev_b64 v[2:3], 3, v[6:7]
	v_mov_b32_e32 v6, v9
	v_mad_u64_u32 v[6:7], s[0:1], s3, v10, v[6:7]
	v_add_co_u32_e32 v2, vcc, v4, v2
	v_add_f32_e32 v15, v32, v30
	v_add_f32_e32 v16, v24, v35
	v_addc_co_u32_e32 v3, vcc, v5, v3, vcc
	v_mov_b32_e32 v9, v6
	global_store_dwordx2 v[2:3], v[15:16], off
	v_lshlrev_b64 v[2:3], 3, v[8:9]
	v_add_u32_e32 v8, 0x424, v51
	v_mad_u64_u32 v[6:7], s[0:1], s2, v8, 0
	v_add_u32_e32 v10, 0x4c4, v51
	v_add_co_u32_e32 v2, vcc, v4, v2
	v_mad_u64_u32 v[7:8], s[0:1], s3, v8, v[7:8]
	v_mad_u64_u32 v[8:9], s[0:1], s2, v10, 0
	v_addc_co_u32_e32 v3, vcc, v5, v3, vcc
	global_store_dwordx2 v[2:3], v[17:18], off
	v_lshlrev_b64 v[2:3], 3, v[6:7]
	v_mov_b32_e32 v6, v9
	v_mad_u64_u32 v[6:7], s[0:1], s3, v10, v[6:7]
	v_add_co_u32_e32 v2, vcc, v4, v2
	v_sub_f32_e32 v19, v19, v23
	v_addc_co_u32_e32 v3, vcc, v5, v3, vcc
	v_mov_b32_e32 v9, v6
	global_store_dwordx2 v[2:3], v[19:20], off
	v_lshlrev_b64 v[2:3], 3, v[8:9]
	v_add_u32_e32 v8, 0x564, v51
	v_mad_u64_u32 v[6:7], s[0:1], s2, v8, 0
	v_add_u32_e32 v10, 0x604, v51
	v_add_co_u32_e32 v2, vcc, v4, v2
	v_mad_u64_u32 v[7:8], s[0:1], s3, v8, v[7:8]
	v_mad_u64_u32 v[8:9], s[0:1], s2, v10, 0
	v_addc_co_u32_e32 v3, vcc, v5, v3, vcc
	global_store_dwordx2 v[2:3], v[21:22], off
	v_lshlrev_b64 v[2:3], 3, v[6:7]
	v_mov_b32_e32 v6, v9
	v_mad_u64_u32 v[6:7], s[0:1], s3, v10, v[6:7]
	v_add_co_u32_e32 v2, vcc, v4, v2
	v_addc_co_u32_e32 v3, vcc, v5, v3, vcc
	v_mov_b32_e32 v9, v6
	global_store_dwordx2 v[2:3], v[0:1], off
	v_lshlrev_b64 v[0:1], 3, v[8:9]
	v_sub_f32_e32 v23, v32, v30
	v_add_co_u32_e32 v0, vcc, v4, v0
	v_sub_f32_e32 v24, v24, v35
	v_addc_co_u32_e32 v1, vcc, v5, v1, vcc
	global_store_dwordx2 v[0:1], v[23:24], off
.LBB0_26:
	s_endpgm
	.section	.rodata,"a",@progbits
	.p2align	6, 0x0
	.amdhsa_kernel fft_rtc_fwd_len1600_factors_10_16_10_wgs_200_tpt_100_halfLds_sp_op_CI_CI_sbrr_dirReg
		.amdhsa_group_segment_fixed_size 0
		.amdhsa_private_segment_fixed_size 0
		.amdhsa_kernarg_size 104
		.amdhsa_user_sgpr_count 6
		.amdhsa_user_sgpr_private_segment_buffer 1
		.amdhsa_user_sgpr_dispatch_ptr 0
		.amdhsa_user_sgpr_queue_ptr 0
		.amdhsa_user_sgpr_kernarg_segment_ptr 1
		.amdhsa_user_sgpr_dispatch_id 0
		.amdhsa_user_sgpr_flat_scratch_init 0
		.amdhsa_user_sgpr_private_segment_size 0
		.amdhsa_uses_dynamic_stack 0
		.amdhsa_system_sgpr_private_segment_wavefront_offset 0
		.amdhsa_system_sgpr_workgroup_id_x 1
		.amdhsa_system_sgpr_workgroup_id_y 0
		.amdhsa_system_sgpr_workgroup_id_z 0
		.amdhsa_system_sgpr_workgroup_info 0
		.amdhsa_system_vgpr_workitem_id 0
		.amdhsa_next_free_vgpr 74
		.amdhsa_next_free_sgpr 32
		.amdhsa_reserve_vcc 1
		.amdhsa_reserve_flat_scratch 0
		.amdhsa_float_round_mode_32 0
		.amdhsa_float_round_mode_16_64 0
		.amdhsa_float_denorm_mode_32 3
		.amdhsa_float_denorm_mode_16_64 3
		.amdhsa_dx10_clamp 1
		.amdhsa_ieee_mode 1
		.amdhsa_fp16_overflow 0
		.amdhsa_exception_fp_ieee_invalid_op 0
		.amdhsa_exception_fp_denorm_src 0
		.amdhsa_exception_fp_ieee_div_zero 0
		.amdhsa_exception_fp_ieee_overflow 0
		.amdhsa_exception_fp_ieee_underflow 0
		.amdhsa_exception_fp_ieee_inexact 0
		.amdhsa_exception_int_div_zero 0
	.end_amdhsa_kernel
	.text
.Lfunc_end0:
	.size	fft_rtc_fwd_len1600_factors_10_16_10_wgs_200_tpt_100_halfLds_sp_op_CI_CI_sbrr_dirReg, .Lfunc_end0-fft_rtc_fwd_len1600_factors_10_16_10_wgs_200_tpt_100_halfLds_sp_op_CI_CI_sbrr_dirReg
                                        ; -- End function
	.section	.AMDGPU.csdata,"",@progbits
; Kernel info:
; codeLenInByte = 10516
; NumSgprs: 36
; NumVgprs: 74
; ScratchSize: 0
; MemoryBound: 0
; FloatMode: 240
; IeeeMode: 1
; LDSByteSize: 0 bytes/workgroup (compile time only)
; SGPRBlocks: 4
; VGPRBlocks: 18
; NumSGPRsForWavesPerEU: 36
; NumVGPRsForWavesPerEU: 74
; Occupancy: 3
; WaveLimiterHint : 1
; COMPUTE_PGM_RSRC2:SCRATCH_EN: 0
; COMPUTE_PGM_RSRC2:USER_SGPR: 6
; COMPUTE_PGM_RSRC2:TRAP_HANDLER: 0
; COMPUTE_PGM_RSRC2:TGID_X_EN: 1
; COMPUTE_PGM_RSRC2:TGID_Y_EN: 0
; COMPUTE_PGM_RSRC2:TGID_Z_EN: 0
; COMPUTE_PGM_RSRC2:TIDIG_COMP_CNT: 0
	.type	__hip_cuid_97afc2ed6784abc2,@object ; @__hip_cuid_97afc2ed6784abc2
	.section	.bss,"aw",@nobits
	.globl	__hip_cuid_97afc2ed6784abc2
__hip_cuid_97afc2ed6784abc2:
	.byte	0                               ; 0x0
	.size	__hip_cuid_97afc2ed6784abc2, 1

	.ident	"AMD clang version 19.0.0git (https://github.com/RadeonOpenCompute/llvm-project roc-6.4.0 25133 c7fe45cf4b819c5991fe208aaa96edf142730f1d)"
	.section	".note.GNU-stack","",@progbits
	.addrsig
	.addrsig_sym __hip_cuid_97afc2ed6784abc2
	.amdgpu_metadata
---
amdhsa.kernels:
  - .args:
      - .actual_access:  read_only
        .address_space:  global
        .offset:         0
        .size:           8
        .value_kind:     global_buffer
      - .offset:         8
        .size:           8
        .value_kind:     by_value
      - .actual_access:  read_only
        .address_space:  global
        .offset:         16
        .size:           8
        .value_kind:     global_buffer
      - .actual_access:  read_only
        .address_space:  global
        .offset:         24
        .size:           8
        .value_kind:     global_buffer
      - .actual_access:  read_only
        .address_space:  global
        .offset:         32
        .size:           8
        .value_kind:     global_buffer
      - .offset:         40
        .size:           8
        .value_kind:     by_value
      - .actual_access:  read_only
        .address_space:  global
        .offset:         48
        .size:           8
        .value_kind:     global_buffer
      - .actual_access:  read_only
        .address_space:  global
        .offset:         56
        .size:           8
        .value_kind:     global_buffer
      - .offset:         64
        .size:           4
        .value_kind:     by_value
      - .actual_access:  read_only
        .address_space:  global
        .offset:         72
        .size:           8
        .value_kind:     global_buffer
      - .actual_access:  read_only
        .address_space:  global
        .offset:         80
        .size:           8
        .value_kind:     global_buffer
      - .actual_access:  read_only
        .address_space:  global
        .offset:         88
        .size:           8
        .value_kind:     global_buffer
      - .actual_access:  write_only
        .address_space:  global
        .offset:         96
        .size:           8
        .value_kind:     global_buffer
    .group_segment_fixed_size: 0
    .kernarg_segment_align: 8
    .kernarg_segment_size: 104
    .language:       OpenCL C
    .language_version:
      - 2
      - 0
    .max_flat_workgroup_size: 200
    .name:           fft_rtc_fwd_len1600_factors_10_16_10_wgs_200_tpt_100_halfLds_sp_op_CI_CI_sbrr_dirReg
    .private_segment_fixed_size: 0
    .sgpr_count:     36
    .sgpr_spill_count: 0
    .symbol:         fft_rtc_fwd_len1600_factors_10_16_10_wgs_200_tpt_100_halfLds_sp_op_CI_CI_sbrr_dirReg.kd
    .uniform_work_group_size: 1
    .uses_dynamic_stack: false
    .vgpr_count:     74
    .vgpr_spill_count: 0
    .wavefront_size: 64
amdhsa.target:   amdgcn-amd-amdhsa--gfx906
amdhsa.version:
  - 1
  - 2
...

	.end_amdgpu_metadata
